;; amdgpu-corpus repo=ROCm/rocFFT kind=compiled arch=gfx1030 opt=O3
	.text
	.amdgcn_target "amdgcn-amd-amdhsa--gfx1030"
	.amdhsa_code_object_version 6
	.protected	fft_rtc_fwd_len1352_factors_2_13_13_4_wgs_52_tpt_52_halfLds_half_op_CI_CI_unitstride_sbrr_dirReg ; -- Begin function fft_rtc_fwd_len1352_factors_2_13_13_4_wgs_52_tpt_52_halfLds_half_op_CI_CI_unitstride_sbrr_dirReg
	.globl	fft_rtc_fwd_len1352_factors_2_13_13_4_wgs_52_tpt_52_halfLds_half_op_CI_CI_unitstride_sbrr_dirReg
	.p2align	8
	.type	fft_rtc_fwd_len1352_factors_2_13_13_4_wgs_52_tpt_52_halfLds_half_op_CI_CI_unitstride_sbrr_dirReg,@function
fft_rtc_fwd_len1352_factors_2_13_13_4_wgs_52_tpt_52_halfLds_half_op_CI_CI_unitstride_sbrr_dirReg: ; @fft_rtc_fwd_len1352_factors_2_13_13_4_wgs_52_tpt_52_halfLds_half_op_CI_CI_unitstride_sbrr_dirReg
; %bb.0:
	s_clause 0x2
	s_load_dwordx4 s[8:11], s[4:5], 0x0
	s_load_dwordx4 s[12:15], s[4:5], 0x58
	;; [unrolled: 1-line block ×3, first 2 shown]
	v_mul_u32_u24_e32 v1, 0x4ed, v0
	v_mov_b32_e32 v3, 0
	v_add_nc_u32_sdwa v5, s6, v1 dst_sel:DWORD dst_unused:UNUSED_PAD src0_sel:DWORD src1_sel:WORD_1
	v_mov_b32_e32 v1, 0
	v_mov_b32_e32 v6, v3
	v_mov_b32_e32 v2, 0
	s_waitcnt lgkmcnt(0)
	v_cmp_lt_u64_e64 s0, s[10:11], 2
	s_and_b32 vcc_lo, exec_lo, s0
	s_cbranch_vccnz .LBB0_8
; %bb.1:
	s_load_dwordx2 s[0:1], s[4:5], 0x10
	v_mov_b32_e32 v1, 0
	v_mov_b32_e32 v2, 0
	s_add_u32 s2, s18, 8
	s_addc_u32 s3, s19, 0
	s_add_u32 s6, s16, 8
	s_addc_u32 s7, s17, 0
	v_mov_b32_e32 v19, v2
	v_mov_b32_e32 v18, v1
	s_mov_b64 s[22:23], 1
	s_waitcnt lgkmcnt(0)
	s_add_u32 s20, s0, 8
	s_addc_u32 s21, s1, 0
.LBB0_2:                                ; =>This Inner Loop Header: Depth=1
	s_load_dwordx2 s[24:25], s[20:21], 0x0
                                        ; implicit-def: $vgpr20_vgpr21
	s_mov_b32 s0, exec_lo
	s_waitcnt lgkmcnt(0)
	v_or_b32_e32 v4, s25, v6
	v_cmpx_ne_u64_e32 0, v[3:4]
	s_xor_b32 s1, exec_lo, s0
	s_cbranch_execz .LBB0_4
; %bb.3:                                ;   in Loop: Header=BB0_2 Depth=1
	v_cvt_f32_u32_e32 v4, s24
	v_cvt_f32_u32_e32 v7, s25
	s_sub_u32 s0, 0, s24
	s_subb_u32 s26, 0, s25
	v_fmac_f32_e32 v4, 0x4f800000, v7
	v_rcp_f32_e32 v4, v4
	v_mul_f32_e32 v4, 0x5f7ffffc, v4
	v_mul_f32_e32 v7, 0x2f800000, v4
	v_trunc_f32_e32 v7, v7
	v_fmac_f32_e32 v4, 0xcf800000, v7
	v_cvt_u32_f32_e32 v7, v7
	v_cvt_u32_f32_e32 v4, v4
	v_mul_lo_u32 v8, s0, v7
	v_mul_hi_u32 v9, s0, v4
	v_mul_lo_u32 v10, s26, v4
	v_add_nc_u32_e32 v8, v9, v8
	v_mul_lo_u32 v9, s0, v4
	v_add_nc_u32_e32 v8, v8, v10
	v_mul_hi_u32 v10, v4, v9
	v_mul_lo_u32 v11, v4, v8
	v_mul_hi_u32 v12, v4, v8
	v_mul_hi_u32 v13, v7, v9
	v_mul_lo_u32 v9, v7, v9
	v_mul_hi_u32 v14, v7, v8
	v_mul_lo_u32 v8, v7, v8
	v_add_co_u32 v10, vcc_lo, v10, v11
	v_add_co_ci_u32_e32 v11, vcc_lo, 0, v12, vcc_lo
	v_add_co_u32 v9, vcc_lo, v10, v9
	v_add_co_ci_u32_e32 v9, vcc_lo, v11, v13, vcc_lo
	v_add_co_ci_u32_e32 v10, vcc_lo, 0, v14, vcc_lo
	v_add_co_u32 v8, vcc_lo, v9, v8
	v_add_co_ci_u32_e32 v9, vcc_lo, 0, v10, vcc_lo
	v_add_co_u32 v4, vcc_lo, v4, v8
	v_add_co_ci_u32_e32 v7, vcc_lo, v7, v9, vcc_lo
	v_mul_hi_u32 v8, s0, v4
	v_mul_lo_u32 v10, s26, v4
	v_mul_lo_u32 v9, s0, v7
	v_add_nc_u32_e32 v8, v8, v9
	v_mul_lo_u32 v9, s0, v4
	v_add_nc_u32_e32 v8, v8, v10
	v_mul_hi_u32 v10, v4, v9
	v_mul_lo_u32 v11, v4, v8
	v_mul_hi_u32 v12, v4, v8
	v_mul_hi_u32 v13, v7, v9
	v_mul_lo_u32 v9, v7, v9
	v_mul_hi_u32 v14, v7, v8
	v_mul_lo_u32 v8, v7, v8
	v_add_co_u32 v10, vcc_lo, v10, v11
	v_add_co_ci_u32_e32 v11, vcc_lo, 0, v12, vcc_lo
	v_add_co_u32 v9, vcc_lo, v10, v9
	v_add_co_ci_u32_e32 v9, vcc_lo, v11, v13, vcc_lo
	v_add_co_ci_u32_e32 v10, vcc_lo, 0, v14, vcc_lo
	v_add_co_u32 v8, vcc_lo, v9, v8
	v_add_co_ci_u32_e32 v9, vcc_lo, 0, v10, vcc_lo
	v_add_co_u32 v4, vcc_lo, v4, v8
	v_add_co_ci_u32_e32 v11, vcc_lo, v7, v9, vcc_lo
	v_mul_hi_u32 v13, v5, v4
	v_mad_u64_u32 v[9:10], null, v6, v4, 0
	v_mad_u64_u32 v[7:8], null, v5, v11, 0
	;; [unrolled: 1-line block ×3, first 2 shown]
	v_add_co_u32 v4, vcc_lo, v13, v7
	v_add_co_ci_u32_e32 v7, vcc_lo, 0, v8, vcc_lo
	v_add_co_u32 v4, vcc_lo, v4, v9
	v_add_co_ci_u32_e32 v4, vcc_lo, v7, v10, vcc_lo
	v_add_co_ci_u32_e32 v7, vcc_lo, 0, v12, vcc_lo
	v_add_co_u32 v4, vcc_lo, v4, v11
	v_add_co_ci_u32_e32 v9, vcc_lo, 0, v7, vcc_lo
	v_mul_lo_u32 v10, s25, v4
	v_mad_u64_u32 v[7:8], null, s24, v4, 0
	v_mul_lo_u32 v11, s24, v9
	v_sub_co_u32 v7, vcc_lo, v5, v7
	v_add3_u32 v8, v8, v11, v10
	v_sub_nc_u32_e32 v10, v6, v8
	v_subrev_co_ci_u32_e64 v10, s0, s25, v10, vcc_lo
	v_add_co_u32 v11, s0, v4, 2
	v_add_co_ci_u32_e64 v12, s0, 0, v9, s0
	v_sub_co_u32 v13, s0, v7, s24
	v_sub_co_ci_u32_e32 v8, vcc_lo, v6, v8, vcc_lo
	v_subrev_co_ci_u32_e64 v10, s0, 0, v10, s0
	v_cmp_le_u32_e32 vcc_lo, s24, v13
	v_cmp_eq_u32_e64 s0, s25, v8
	v_cndmask_b32_e64 v13, 0, -1, vcc_lo
	v_cmp_le_u32_e32 vcc_lo, s25, v10
	v_cndmask_b32_e64 v14, 0, -1, vcc_lo
	v_cmp_le_u32_e32 vcc_lo, s24, v7
	;; [unrolled: 2-line block ×3, first 2 shown]
	v_cndmask_b32_e64 v15, 0, -1, vcc_lo
	v_cmp_eq_u32_e32 vcc_lo, s25, v10
	v_cndmask_b32_e64 v7, v15, v7, s0
	v_cndmask_b32_e32 v10, v14, v13, vcc_lo
	v_add_co_u32 v13, vcc_lo, v4, 1
	v_add_co_ci_u32_e32 v14, vcc_lo, 0, v9, vcc_lo
	v_cmp_ne_u32_e32 vcc_lo, 0, v10
	v_cndmask_b32_e32 v8, v14, v12, vcc_lo
	v_cndmask_b32_e32 v10, v13, v11, vcc_lo
	v_cmp_ne_u32_e32 vcc_lo, 0, v7
	v_cndmask_b32_e32 v21, v9, v8, vcc_lo
	v_cndmask_b32_e32 v20, v4, v10, vcc_lo
.LBB0_4:                                ;   in Loop: Header=BB0_2 Depth=1
	s_andn2_saveexec_b32 s0, s1
	s_cbranch_execz .LBB0_6
; %bb.5:                                ;   in Loop: Header=BB0_2 Depth=1
	v_cvt_f32_u32_e32 v4, s24
	s_sub_i32 s1, 0, s24
	v_mov_b32_e32 v21, v3
	v_rcp_iflag_f32_e32 v4, v4
	v_mul_f32_e32 v4, 0x4f7ffffe, v4
	v_cvt_u32_f32_e32 v4, v4
	v_mul_lo_u32 v7, s1, v4
	v_mul_hi_u32 v7, v4, v7
	v_add_nc_u32_e32 v4, v4, v7
	v_mul_hi_u32 v4, v5, v4
	v_mul_lo_u32 v7, v4, s24
	v_add_nc_u32_e32 v8, 1, v4
	v_sub_nc_u32_e32 v7, v5, v7
	v_subrev_nc_u32_e32 v9, s24, v7
	v_cmp_le_u32_e32 vcc_lo, s24, v7
	v_cndmask_b32_e32 v7, v7, v9, vcc_lo
	v_cndmask_b32_e32 v4, v4, v8, vcc_lo
	v_cmp_le_u32_e32 vcc_lo, s24, v7
	v_add_nc_u32_e32 v8, 1, v4
	v_cndmask_b32_e32 v20, v4, v8, vcc_lo
.LBB0_6:                                ;   in Loop: Header=BB0_2 Depth=1
	s_or_b32 exec_lo, exec_lo, s0
	v_mul_lo_u32 v4, v21, s24
	v_mul_lo_u32 v9, v20, s25
	s_load_dwordx2 s[0:1], s[6:7], 0x0
	v_mad_u64_u32 v[7:8], null, v20, s24, 0
	s_load_dwordx2 s[24:25], s[2:3], 0x0
	s_add_u32 s22, s22, 1
	s_addc_u32 s23, s23, 0
	s_add_u32 s2, s2, 8
	s_addc_u32 s3, s3, 0
	s_add_u32 s6, s6, 8
	v_add3_u32 v4, v8, v9, v4
	v_sub_co_u32 v5, vcc_lo, v5, v7
	s_addc_u32 s7, s7, 0
	s_add_u32 s20, s20, 8
	v_sub_co_ci_u32_e32 v4, vcc_lo, v6, v4, vcc_lo
	s_addc_u32 s21, s21, 0
	s_waitcnt lgkmcnt(0)
	v_mul_lo_u32 v6, s0, v4
	v_mul_lo_u32 v7, s1, v5
	v_mad_u64_u32 v[1:2], null, s0, v5, v[1:2]
	v_mul_lo_u32 v4, s24, v4
	v_mul_lo_u32 v8, s25, v5
	v_mad_u64_u32 v[18:19], null, s24, v5, v[18:19]
	v_cmp_ge_u64_e64 s0, s[22:23], s[10:11]
	v_add3_u32 v2, v7, v2, v6
	v_add3_u32 v19, v8, v19, v4
	s_and_b32 vcc_lo, exec_lo, s0
	s_cbranch_vccnz .LBB0_9
; %bb.7:                                ;   in Loop: Header=BB0_2 Depth=1
	v_mov_b32_e32 v5, v20
	v_mov_b32_e32 v6, v21
	s_branch .LBB0_2
.LBB0_8:
	v_mov_b32_e32 v19, v2
	v_mov_b32_e32 v21, v6
	;; [unrolled: 1-line block ×4, first 2 shown]
.LBB0_9:
	s_load_dwordx2 s[0:1], s[4:5], 0x28
	v_mul_hi_u32 v47, 0x4ec4ec5, v0
	s_lshl_b64 s[4:5], s[10:11], 3
                                        ; implicit-def: $sgpr6
                                        ; implicit-def: $vgpr24
	s_add_u32 s2, s18, s4
	s_addc_u32 s3, s19, s5
	s_waitcnt lgkmcnt(0)
	v_cmp_gt_u64_e32 vcc_lo, s[0:1], v[20:21]
	v_cmp_le_u64_e64 s0, s[0:1], v[20:21]
	s_and_saveexec_b32 s1, s0
	s_xor_b32 s0, exec_lo, s1
; %bb.10:
	v_mul_u32_u24_e32 v1, 52, v47
	s_mov_b32 s6, 0
                                        ; implicit-def: $vgpr47
	v_sub_nc_u32_e32 v24, v0, v1
                                        ; implicit-def: $vgpr0
                                        ; implicit-def: $vgpr1_vgpr2
; %bb.11:
	s_or_saveexec_b32 s1, s0
	v_mov_b32_e32 v13, s6
	v_mov_b32_e32 v34, s6
	;; [unrolled: 1-line block ×13, first 2 shown]
                                        ; implicit-def: $vgpr46
                                        ; implicit-def: $vgpr36
                                        ; implicit-def: $vgpr45
                                        ; implicit-def: $vgpr35
                                        ; implicit-def: $vgpr44
                                        ; implicit-def: $vgpr32
                                        ; implicit-def: $vgpr43
                                        ; implicit-def: $vgpr27
                                        ; implicit-def: $vgpr42
                                        ; implicit-def: $vgpr25
                                        ; implicit-def: $vgpr41
                                        ; implicit-def: $vgpr22
                                        ; implicit-def: $vgpr40
                                        ; implicit-def: $vgpr29
                                        ; implicit-def: $vgpr39
                                        ; implicit-def: $vgpr11
                                        ; implicit-def: $vgpr38
                                        ; implicit-def: $vgpr12
                                        ; implicit-def: $vgpr37
                                        ; implicit-def: $vgpr8
                                        ; implicit-def: $vgpr33
                                        ; implicit-def: $vgpr9
                                        ; implicit-def: $vgpr28
                                        ; implicit-def: $vgpr14
                                        ; implicit-def: $vgpr30
                                        ; implicit-def: $vgpr16
	s_xor_b32 exec_lo, exec_lo, s1
	s_cbranch_execz .LBB0_13
; %bb.12:
	s_add_u32 s4, s16, s4
	s_addc_u32 s5, s17, s5
	v_lshlrev_b64 v[1:2], 2, v[1:2]
	s_load_dwordx2 s[4:5], s[4:5], 0x0
	s_waitcnt lgkmcnt(0)
	v_mul_lo_u32 v5, s5, v20
	v_mul_lo_u32 v6, s4, v21
	v_mad_u64_u32 v[3:4], null, s4, v20, 0
	v_add3_u32 v4, v4, v6, v5
	v_mul_u32_u24_e32 v5, 52, v47
	v_lshlrev_b64 v[3:4], 2, v[3:4]
	v_sub_nc_u32_e32 v24, v0, v5
	v_add_co_u32 v0, s0, s12, v3
	v_add_co_ci_u32_e64 v3, s0, s13, v4, s0
	v_lshlrev_b32_e32 v4, 2, v24
	v_add_co_u32 v5, s0, v0, v1
	v_add_co_ci_u32_e64 v3, s0, v3, v2, s0
	v_or_b32_e32 v2, 0xd00, v4
	v_add_co_u32 v0, s0, v5, v4
	v_add_co_ci_u32_e64 v1, s0, 0, v3, s0
	v_add_co_u32 v2, s0, v5, v2
	v_add_co_ci_u32_e64 v3, s0, 0, v3, s0
	;; [unrolled: 2-line block ×4, first 2 shown]
	s_clause 0x19
	global_load_dword v36, v[37:38], off offset:656
	global_load_dword v35, v[37:38], off offset:864
	;; [unrolled: 1-line block ×5, first 2 shown]
	global_load_dword v27, v[2:3], off
	global_load_dword v11, v[4:5], off offset:64
	global_load_dword v12, v[4:5], off offset:272
	;; [unrolled: 1-line block ×5, first 2 shown]
	global_load_dword v13, v[0:1], off
	global_load_dword v34, v[0:1], off offset:208
	global_load_dword v31, v[0:1], off offset:416
	global_load_dword v26, v[0:1], off offset:624
	global_load_dword v23, v[0:1], off offset:832
	global_load_dword v17, v[0:1], off offset:1040
	global_load_dword v15, v[0:1], off offset:1248
	global_load_dword v7, v[0:1], off offset:1456
	global_load_dword v14, v[4:5], off offset:896
	global_load_dword v16, v[4:5], off offset:1104
	global_load_dword v10, v[0:1], off offset:1664
	global_load_dword v6, v[0:1], off offset:1872
	global_load_dword v5, v[37:38], off offset:32
	global_load_dword v3, v[37:38], off offset:240
	global_load_dword v4, v[37:38], off offset:448
	s_waitcnt vmcnt(25)
	v_lshrrev_b32_e32 v46, 16, v36
	s_waitcnt vmcnt(24)
	v_lshrrev_b32_e32 v45, 16, v35
	;; [unrolled: 2-line block ×13, first 2 shown]
.LBB0_13:
	s_or_b32 exec_lo, exec_lo, s1
	v_lshrrev_b32_e32 v0, 16, v13
	v_sub_f16_e32 v1, v13, v36
	v_lshrrev_b32_e32 v2, 16, v34
	v_sub_f16_e32 v32, v31, v32
	v_sub_f16_e32 v35, v34, v35
	;; [unrolled: 1-line block ×3, first 2 shown]
	v_lshrrev_b32_e32 v46, 16, v31
	v_sub_f16_e32 v47, v2, v45
	s_waitcnt vmcnt(1)
	v_sub_f16_e32 v14, v3, v14
	v_lshrrev_b32_e32 v45, 16, v23
	v_fma_f16 v48, v0, 2.0, -v36
	v_lshrrev_b32_e32 v0, 16, v26
	v_sub_f16_e32 v49, v46, v44
	v_fma_f16 v44, v2, 2.0, -v47
	v_fma_f16 v2, v31, 2.0, -v32
	v_sub_f16_e32 v27, v26, v27
	v_sub_f16_e32 v31, v0, v43
	;; [unrolled: 1-line block ×4, first 2 shown]
	v_fma_f16 v13, v13, 2.0, -v1
	v_fma_f16 v34, v34, 2.0, -v35
	v_fma_f16 v50, v0, 2.0, -v31
	v_lshrrev_b32_e32 v0, 16, v17
	v_sub_f16_e32 v29, v15, v29
	v_sub_f16_e32 v51, v45, v42
	v_lshrrev_b32_e32 v42, 16, v15
	v_sub_f16_e32 v11, v7, v11
	v_sub_f16_e32 v52, v0, v41
	;; [unrolled: 1-line block ×4, first 2 shown]
	s_waitcnt vmcnt(0)
	v_sub_f16_e32 v16, v4, v16
	v_fma_f16 v26, v26, 2.0, -v27
	v_fma_f16 v55, v0, 2.0, -v52
	v_lshrrev_b32_e32 v0, 16, v7
	v_fma_f16 v23, v23, 2.0, -v25
	v_sub_f16_e32 v9, v5, v9
	v_fma_f16 v17, v17, 2.0, -v22
	v_fma_f16 v15, v15, 2.0, -v29
	v_sub_f16_e32 v57, v0, v39
	v_lshrrev_b32_e32 v39, 16, v6
	v_pack_b32_f16 v13, v13, v1
	v_add_nc_u32_e32 v1, 0x138, v24
	v_sub_f16_e32 v54, v42, v40
	v_fma_f16 v58, v0, 2.0, -v57
	v_sub_f16_e32 v37, v39, v37
	v_lshrrev_b32_e32 v0, 16, v5
	v_lshrrev_b32_e32 v40, 16, v10
	v_fma_f16 v7, v7, 2.0, -v11
	v_fma_f16 v10, v10, 2.0, -v12
	;; [unrolled: 1-line block ×3, first 2 shown]
	v_lshrrev_b32_e32 v39, 16, v3
	v_sub_f16_e32 v61, v0, v33
	v_lshrrev_b32_e32 v33, 16, v4
	v_fma_f16 v6, v6, 2.0, -v8
	v_fma_f16 v4, v4, 2.0, -v16
	v_sub_f16_e32 v62, v39, v28
	v_fma_f16 v28, v3, 2.0, -v14
	v_sub_f16_e32 v30, v33, v30
	v_add_nc_u32_e32 v3, 52, v24
	v_fma_f16 v63, v0, 2.0, -v61
	v_add_nc_u32_e32 v0, 0x104, v24
	v_lshl_add_u32 v66, v24, 2, 0
	v_fma_f16 v65, v33, 2.0, -v30
	v_lshl_add_u32 v67, v3, 2, 0
	v_pack_b32_f16 v33, v34, v35
	v_pack_b32_f16 v2, v2, v32
	v_fma_f16 v5, v5, 2.0, -v9
	v_pack_b32_f16 v26, v26, v27
	v_pack_b32_f16 v23, v23, v25
	v_lshl_add_u32 v32, v0, 2, 0
	v_pack_b32_f16 v17, v17, v22
	s_load_dwordx2 s[2:3], s[2:3], 0x0
	ds_write_b32 v67, v33
	ds_write2_b32 v66, v13, v2 offset1:104
	ds_write2_b32 v66, v26, v23 offset0:156 offset1:208
	ds_write_b32 v32, v17
	v_lshl_add_u32 v13, v1, 2, 0
	v_pack_b32_f16 v2, v15, v29
	v_fma_f16 v43, v46, 2.0, -v49
	v_pack_b32_f16 v7, v7, v11
	v_pack_b32_f16 v10, v10, v12
	v_add_nc_u32_e32 v12, 0x400, v66
	v_pack_b32_f16 v6, v6, v8
	v_pack_b32_f16 v8, v28, v14
	v_pack_b32_f16 v4, v4, v16
	v_add_nc_u32_e32 v16, 0x800, v66
	v_fma_f16 v53, v45, 2.0, -v51
	v_pack_b32_f16 v5, v5, v9
	v_add_nc_u32_e32 v23, 0x600, v66
	v_sub_f16_e32 v38, v40, v38
	ds_write_b32 v13, v2
	ds_write2_b32 v12, v7, v10 offset0:108 offset1:160
	ds_write2_b32 v23, v6, v5 offset0:84 offset1:136
	v_lshl_add_u32 v2, v24, 1, 0
	v_pack_b32_f16 v5, v44, v47
	ds_write2_b32 v16, v8, v4 offset0:60 offset1:112
	v_pack_b32_f16 v4, v48, v36
	v_pack_b32_f16 v6, v43, v49
	;; [unrolled: 1-line block ×5, first 2 shown]
	v_fma_f16 v56, v42, 2.0, -v54
	v_fma_f16 v59, v40, 2.0, -v38
	;; [unrolled: 1-line block ×3, first 2 shown]
	s_waitcnt lgkmcnt(0)
	s_barrier
	buffer_gl0_inv
	ds_read_u16 v8, v2
	ds_read_u16 v11, v2 offset:832
	ds_read_u16 v9, v2 offset:1664
	ds_read_u16 v14, v2 offset:728
	ds_read_u16 v27, v2 offset:624
	ds_read_u16 v22, v2 offset:520
	ds_read_u16 v17, v2 offset:416
	ds_read_u16 v28, v2 offset:312
	ds_read_u16 v35, v2 offset:208
	ds_read_u16 v7, v2 offset:104
	ds_read_u16 v10, v2 offset:1560
	ds_read_u16 v29, v2 offset:1456
	ds_read_u16 v15, v2 offset:1352
	ds_read_u16 v33, v2 offset:1248
	ds_read_u16 v25, v2 offset:1144
	ds_read_u16 v34, v2 offset:1040
	ds_read_u16 v45, v2 offset:936
	ds_read_u16 v39, v2 offset:2392
	ds_read_u16 v42, v2 offset:2288
	ds_read_u16 v40, v2 offset:2184
	ds_read_u16 v44, v2 offset:2080
	ds_read_u16 v41, v2 offset:1976
	ds_read_u16 v46, v2 offset:1872
	ds_read_u16 v48, v2 offset:1768
	ds_read_u16 v47, v2 offset:2496
	ds_read_u16 v43, v2 offset:2600
	s_waitcnt lgkmcnt(0)
	s_barrier
	buffer_gl0_inv
	ds_write_b32 v67, v5
	ds_write2_b32 v66, v4, v6 offset1:104
	ds_write2_b32 v66, v26, v31 offset0:156 offset1:208
	ds_write_b32 v32, v36
	v_and_b32_e32 v4, 1, v24
	v_pack_b32_f16 v5, v56, v54
	v_pack_b32_f16 v31, v60, v37
	;; [unrolled: 1-line block ×4, first 2 shown]
	v_mul_u32_u24_e32 v37, 12, v4
	v_pack_b32_f16 v32, v63, v61
	v_pack_b32_f16 v36, v64, v62
	;; [unrolled: 1-line block ×3, first 2 shown]
	ds_write_b32 v13, v5
	ds_write2_b32 v12, v6, v26 offset0:108 offset1:160
	ds_write2_b32 v23, v31, v32 offset0:84 offset1:136
	v_lshlrev_b32_e32 v5, 2, v37
	v_cmp_gt_u32_e64 s0, 26, v24
	ds_write2_b32 v16, v36, v30 offset0:60 offset1:112
	s_waitcnt lgkmcnt(0)
	s_barrier
	buffer_gl0_inv
	s_clause 0x2
	global_load_dwordx4 v[50:53], v5, s[8:9]
	global_load_dwordx4 v[56:59], v5, s[8:9] offset:16
	global_load_dwordx4 v[60:63], v5, s[8:9] offset:32
	ds_read_u16 v37, v2 offset:208
	ds_read_u16 v54, v2 offset:832
	;; [unrolled: 1-line block ×25, first 2 shown]
	ds_read_u16 v85, v2
	s_waitcnt vmcnt(0) lgkmcnt(0)
	s_barrier
	buffer_gl0_inv
	v_mul_f16_sdwa v86, v37, v50 dst_sel:DWORD dst_unused:UNUSED_PAD src0_sel:DWORD src1_sel:WORD_1
	v_mul_f16_sdwa v87, v35, v50 dst_sel:DWORD dst_unused:UNUSED_PAD src0_sel:DWORD src1_sel:WORD_1
	;; [unrolled: 1-line block ×19, first 2 shown]
	v_fma_f16 v86, v35, v50, -v86
	v_mul_f16_sdwa v112, v83, v63 dst_sel:DWORD dst_unused:UNUSED_PAD src0_sel:DWORD src1_sel:WORD_1
	v_fmac_f16_e32 v87, v37, v50
	v_fmac_f16_e32 v89, v66, v51
	v_fma_f16 v66, v27, v52, -v90
	v_mul_f16_sdwa v90, v79, v61 dst_sel:DWORD dst_unused:UNUSED_PAD src0_sel:DWORD src1_sel:WORD_1
	v_fma_f16 v92, v11, v53, -v92
	v_mul_f16_sdwa v11, v77, v62 dst_sel:DWORD dst_unused:UNUSED_PAD src0_sel:DWORD src1_sel:WORD_1
	v_fmac_f16_e32 v113, v83, v63
	v_mul_f16_sdwa v96, v64, v52 dst_sel:DWORD dst_unused:UNUSED_PAD src0_sel:DWORD src1_sel:WORD_1
	v_mul_f16_sdwa v16, v45, v53 dst_sel:DWORD dst_unused:UNUSED_PAD src0_sel:DWORD src1_sel:WORD_1
	;; [unrolled: 1-line block ×16, first 2 shown]
	v_fma_f16 v88, v17, v51, -v88
	v_mul_f16_sdwa v114, v81, v60 dst_sel:DWORD dst_unused:UNUSED_PAD src0_sel:DWORD src1_sel:WORD_1
	v_mul_f16_sdwa v17, v41, v60 dst_sel:DWORD dst_unused:UNUSED_PAD src0_sel:DWORD src1_sel:WORD_1
	v_fmac_f16_e32 v91, v55, v52
	v_mul_f16_sdwa v27, v40, v61 dst_sel:DWORD dst_unused:UNUSED_PAD src0_sel:DWORD src1_sel:WORD_1
	v_fmac_f16_e32 v93, v54, v53
	v_mul_f16_sdwa v35, v39, v62 dst_sel:DWORD dst_unused:UNUSED_PAD src0_sel:DWORD src1_sel:WORD_1
	v_fma_f16 v54, v28, v50, -v94
	v_mul_f16_sdwa v94, v84, v63 dst_sel:DWORD dst_unused:UNUSED_PAD src0_sel:DWORD src1_sel:WORD_1
	v_fmac_f16_e32 v49, v67, v50
	v_mul_f16_sdwa v55, v43, v63 dst_sel:DWORD dst_unused:UNUSED_PAD src0_sel:DWORD src1_sel:WORD_1
	v_fma_f16 v37, v22, v51, -v95
	v_fmac_f16_e32 v32, v65, v51
	v_fma_f16 v22, v45, v53, -v97
	v_fma_f16 v45, v34, v56, -v98
	;; [unrolled: 1-line block ×9, first 2 shown]
	v_sub_f16_e32 v11, v87, v113
	v_add_f16_e32 v48, v8, v86
	v_add_f16_e32 v51, v85, v87
	v_mul_f16_sdwa v26, v14, v52 dst_sel:DWORD dst_unused:UNUSED_PAD src0_sel:DWORD src1_sel:WORD_1
	v_mul_f16_sdwa v12, v25, v56 dst_sel:DWORD dst_unused:UNUSED_PAD src0_sel:DWORD src1_sel:WORD_1
	v_fma_f16 v28, v14, v52, -v96
	v_fmac_f16_e32 v31, v69, v58
	v_fmac_f16_e32 v38, v75, v59
	v_fma_f16 v14, v25, v56, -v102
	v_fma_f16 v10, v10, v58, -v104
	v_fmac_f16_e32 v6, v68, v58
	v_fmac_f16_e32 v13, v76, v59
	v_fma_f16 v46, v46, v60, -v106
	v_fmac_f16_e32 v107, v82, v60
	v_fma_f16 v44, v44, v61, -v108
	;; [unrolled: 2-line block ×4, first 2 shown]
	v_fmac_f16_e32 v17, v81, v60
	v_fmac_f16_e32 v27, v79, v61
	;; [unrolled: 1-line block ×3, first 2 shown]
	v_fma_f16 v58, v43, v63, -v94
	v_fmac_f16_e32 v55, v84, v63
	v_add_f16_e32 v39, v86, v47
	v_mul_f16_e32 v59, 0xb770, v11
	v_mul_f16_e32 v60, 0xba95, v11
	;; [unrolled: 1-line block ×6, first 2 shown]
	v_add_f16_e32 v48, v48, v88
	v_add_f16_e32 v51, v51, v89
	v_mul_f16_sdwa v99, v71, v57 dst_sel:DWORD dst_unused:UNUSED_PAD src0_sel:DWORD src1_sel:WORD_1
	v_fma_f16 v78, v39, 0x3b15, -v59
	v_fmac_f16_e32 v59, 0x3b15, v39
	v_fma_f16 v79, v39, 0x388b, -v60
	v_fmac_f16_e32 v60, 0x388b, v39
	;; [unrolled: 2-line block ×6, first 2 shown]
	v_add_f16_e32 v48, v48, v66
	v_add_f16_e32 v51, v51, v91
	v_mul_f16_sdwa v30, v33, v57 dst_sel:DWORD dst_unused:UNUSED_PAD src0_sel:DWORD src1_sel:WORD_1
	v_fmac_f16_e32 v36, v73, v56
	v_fma_f16 v33, v33, v57, -v99
	v_add_f16_e32 v78, v8, v78
	v_add_f16_e32 v59, v8, v59
	;; [unrolled: 1-line block ×14, first 2 shown]
	v_fmac_f16_e32 v30, v71, v57
	v_sub_f16_e32 v41, v86, v47
	v_fmac_f16_e32 v26, v64, v52
	v_add_f16_e32 v8, v8, v45
	v_add_f16_e32 v11, v11, v36
	v_fmac_f16_e32 v12, v72, v56
	v_add_f16_e32 v43, v87, v113
	v_sub_f16_e32 v52, v89, v111
	v_add_f16_e32 v8, v8, v33
	v_add_f16_e32 v11, v11, v30
	v_sub_f16_e32 v56, v88, v42
	v_mul_f16_e32 v64, 0xb770, v41
	v_mul_f16_e32 v65, 0xba95, v41
	v_add_f16_e32 v8, v8, v34
	v_add_f16_e32 v11, v11, v31
	v_fmac_f16_e32 v16, v74, v53
	v_fmac_f16_e32 v5, v70, v57
	v_add_f16_e32 v53, v88, v42
	v_add_f16_e32 v57, v89, v111
	v_mul_f16_e32 v67, 0xbbf1, v41
	v_mul_f16_e32 v72, 0xbb7b, v52
	;; [unrolled: 1-line block ×3, first 2 shown]
	v_fmamk_f16 v39, v43, 0x3b15, v64
	v_fma_f16 v64, v43, 0x3b15, -v64
	v_fmamk_f16 v84, v43, 0x388b, v65
	v_fma_f16 v65, v43, 0x388b, -v65
	v_add_f16_e32 v8, v8, v50
	v_add_f16_e32 v11, v11, v38
	v_mul_f16_e32 v68, 0xbb7b, v41
	v_mul_f16_e32 v69, 0xb94e, v41
	;; [unrolled: 1-line block ×5, first 2 shown]
	v_fmamk_f16 v86, v43, 0x2fb7, v67
	v_fma_f16 v67, v43, 0x2fb7, -v67
	v_fma_f16 v94, v53, 0xb5ac, -v72
	v_fmamk_f16 v95, v57, 0xb5ac, v73
	v_fmac_f16_e32 v72, 0xb5ac, v53
	v_fma_f16 v73, v57, 0xb5ac, -v73
	v_add_f16_e32 v48, v85, v64
	v_add_f16_e32 v64, v85, v65
	;; [unrolled: 1-line block ×4, first 2 shown]
	v_mul_f16_e32 v77, 0x394e, v56
	v_fmamk_f16 v87, v43, 0xb5ac, v68
	v_fma_f16 v68, v43, 0xb5ac, -v68
	v_fmamk_f16 v88, v43, 0xb9fd, v69
	v_fma_f16 v96, v53, 0xbbc4, -v74
	v_fmamk_f16 v97, v57, 0xbbc4, v75
	v_fmac_f16_e32 v74, 0xbbc4, v53
	v_fma_f16 v75, v57, 0xbbc4, -v75
	v_fma_f16 v98, v53, 0xb9fd, -v76
	v_add_f16_e32 v67, v85, v67
	v_add_f16_e32 v8, v8, v44
	;; [unrolled: 1-line block ×5, first 2 shown]
	v_fmac_f16_e32 v76, 0xb9fd, v53
	v_mul_f16_e32 v72, 0x3bf1, v52
	v_mul_f16_e32 v73, 0x3bf1, v56
	;; [unrolled: 1-line block ×5, first 2 shown]
	v_fma_f16 v69, v43, 0xb9fd, -v69
	v_add_f16_e32 v65, v85, v86
	v_add_f16_e32 v68, v85, v68
	;; [unrolled: 1-line block ×7, first 2 shown]
	v_fma_f16 v74, v57, 0xb9fd, -v77
	v_add_f16_e32 v62, v76, v62
	v_fma_f16 v75, v53, 0x2fb7, -v72
	v_fmamk_f16 v76, v57, 0x2fb7, v73
	v_fmac_f16_e32 v72, 0x2fb7, v53
	v_mul_f16_e32 v52, 0x3770, v52
	v_mul_f16_e32 v56, 0x3770, v56
	v_fmamk_f16 v89, v43, 0xbbc4, v41
	v_fma_f16 v41, v43, 0xbbc4, -v41
	v_fma_f16 v43, v53, 0x388b, -v70
	v_fmamk_f16 v90, v57, 0x388b, v71
	v_fmac_f16_e32 v70, 0x388b, v53
	v_fma_f16 v71, v57, 0x388b, -v71
	v_add_f16_e32 v69, v85, v69
	v_add_f16_e32 v11, v8, v47
	;; [unrolled: 1-line block ×3, first 2 shown]
	v_fmamk_f16 v42, v57, 0xb9fd, v77
	v_add_f16_e32 v68, v74, v68
	v_add_f16_e32 v74, v75, v82
	;; [unrolled: 1-line block ×4, first 2 shown]
	v_fma_f16 v72, v53, 0x3b15, -v52
	v_fmac_f16_e32 v52, 0x3b15, v53
	v_fma_f16 v53, v57, 0x2fb7, -v73
	v_sub_f16_e32 v73, v91, v109
	v_fmamk_f16 v76, v57, 0x3b15, v56
	v_fma_f16 v56, v57, 0x3b15, -v56
	v_add_f16_e32 v57, v66, v44
	v_sub_f16_e32 v44, v66, v44
	v_add_f16_e32 v39, v85, v39
	v_add_f16_e32 v41, v85, v41
	v_mul_f16_e32 v66, 0xbbf1, v73
	v_add_f16_e32 v53, v53, v69
	v_add_f16_e32 v69, v72, v83
	;; [unrolled: 1-line block ×3, first 2 shown]
	v_mul_f16_e32 v77, 0xbbf1, v44
	v_add_f16_e32 v43, v43, v78
	v_add_f16_e32 v39, v90, v39
	v_fma_f16 v78, v57, 0x2fb7, -v66
	v_add_f16_e32 v41, v56, v41
	v_fmamk_f16 v56, v72, 0x2fb7, v77
	v_add_f16_e32 v51, v85, v84
	v_add_f16_e32 v59, v70, v59
	;; [unrolled: 1-line block ×4, first 2 shown]
	v_mul_f16_e32 v78, 0xb3a8, v73
	v_fmac_f16_e32 v66, 0x2fb7, v57
	v_fma_f16 v77, v72, 0x2fb7, -v77
	v_add_f16_e32 v39, v56, v39
	v_mul_f16_e32 v56, 0xb3a8, v44
	v_add_f16_e32 v70, v94, v79
	v_add_f16_e32 v51, v95, v51
	v_fma_f16 v79, v57, 0xbbc4, -v78
	v_add_f16_e32 v59, v66, v59
	v_add_f16_e32 v48, v77, v48
	v_mul_f16_e32 v66, 0x3b7b, v73
	v_fmamk_f16 v77, v72, 0xbbc4, v56
	v_add_f16_e32 v71, v96, v80
	v_add_f16_e32 v70, v79, v70
	v_fmac_f16_e32 v78, 0xbbc4, v57
	v_fma_f16 v56, v72, 0xbbc4, -v56
	v_fma_f16 v79, v57, 0xb5ac, -v66
	v_add_f16_e32 v51, v77, v51
	v_mul_f16_e32 v77, 0x3b7b, v44
	v_add_f16_e32 v84, v85, v87
	v_add_f16_e32 v60, v78, v60
	;; [unrolled: 1-line block ×4, first 2 shown]
	v_fmamk_f16 v78, v72, 0xb5ac, v77
	v_fmac_f16_e32 v66, 0xb5ac, v57
	v_fma_f16 v77, v72, 0xb5ac, -v77
	v_mul_f16_e32 v79, 0x3770, v44
	v_add_f16_e32 v42, v42, v84
	v_mul_f16_e32 v71, 0x3770, v73
	v_add_f16_e32 v61, v66, v61
	v_add_f16_e32 v66, v77, v67
	v_fmamk_f16 v67, v72, 0x3b15, v79
	v_add_f16_e32 v65, v97, v65
	v_fma_f16 v80, v57, 0x3b15, -v71
	v_fmac_f16_e32 v71, 0x3b15, v57
	v_mul_f16_e32 v77, 0xba95, v73
	v_add_f16_e32 v42, v67, v42
	v_fma_f16 v67, v72, 0x3b15, -v79
	v_add_f16_e32 v65, v78, v65
	v_mul_f16_e32 v78, 0xba95, v44
	v_add_f16_e32 v62, v71, v62
	v_fma_f16 v71, v57, 0x388b, -v77
	v_fmac_f16_e32 v77, 0x388b, v57
	v_add_f16_e32 v67, v67, v68
	v_mul_f16_e32 v68, 0xb94e, v73
	v_mul_f16_e32 v44, 0xb94e, v44
	v_fmamk_f16 v79, v72, 0x388b, v78
	v_add_f16_e32 v71, v71, v74
	v_add_f16_e32 v63, v77, v63
	v_fma_f16 v74, v57, 0xb9fd, -v68
	v_fmac_f16_e32 v68, 0xb9fd, v57
	v_fma_f16 v57, v72, 0x388b, -v78
	v_fmamk_f16 v77, v72, 0xb9fd, v44
	v_fma_f16 v44, v72, 0xb9fd, -v44
	v_add_f16_e32 v72, v92, v46
	v_sub_f16_e32 v46, v92, v46
	v_add_f16_e32 v73, v79, v75
	v_sub_f16_e32 v75, v93, v107
	v_add_f16_e32 v53, v57, v53
	v_add_f16_e32 v57, v74, v69
	;; [unrolled: 1-line block ×3, first 2 shown]
	v_mul_f16_e32 v74, 0xbb7b, v46
	v_add_f16_e32 v87, v85, v89
	v_add_f16_e32 v52, v52, v99
	v_mul_f16_e32 v78, 0xbb7b, v75
	v_add_f16_e32 v41, v44, v41
	v_fmamk_f16 v44, v69, 0xb5ac, v74
	v_add_f16_e32 v76, v76, v87
	v_add_f16_e32 v52, v68, v52
	v_fma_f16 v79, v72, 0xb5ac, -v78
	v_mul_f16_e32 v68, 0x394e, v75
	v_fmac_f16_e32 v78, 0xb5ac, v72
	v_fma_f16 v74, v69, 0xb5ac, -v74
	v_add_f16_e32 v39, v44, v39
	v_mul_f16_e32 v44, 0x394e, v46
	v_add_f16_e32 v76, v77, v76
	v_fma_f16 v77, v72, 0xb9fd, -v68
	v_add_f16_e32 v59, v78, v59
	v_add_f16_e32 v48, v74, v48
	v_mul_f16_e32 v74, 0x3770, v75
	v_fmamk_f16 v78, v69, 0xb9fd, v44
	v_add_f16_e32 v70, v77, v70
	v_fmac_f16_e32 v68, 0xb9fd, v72
	v_fma_f16 v44, v69, 0xb9fd, -v44
	v_fma_f16 v77, v72, 0x3b15, -v74
	v_add_f16_e32 v51, v78, v51
	v_mul_f16_e32 v78, 0x3770, v46
	v_add_f16_e32 v60, v68, v60
	v_add_f16_e32 v44, v44, v56
	;; [unrolled: 1-line block ×3, first 2 shown]
	v_mul_f16_e32 v64, 0xbbf1, v75
	v_fmamk_f16 v68, v69, 0x3b15, v78
	v_fma_f16 v77, v69, 0x3b15, -v78
	v_mul_f16_e32 v78, 0xbbf1, v46
	v_fmac_f16_e32 v74, 0x3b15, v72
	v_add_f16_e32 v43, v79, v43
	v_add_f16_e32 v65, v68, v65
	v_fma_f16 v79, v72, 0x2fb7, -v64
	v_fmamk_f16 v68, v69, 0x2fb7, v78
	v_add_f16_e32 v61, v74, v61
	v_add_f16_e32 v66, v77, v66
	v_fmac_f16_e32 v64, 0x2fb7, v72
	v_mul_f16_e32 v74, 0x33a8, v75
	v_mul_f16_e32 v77, 0x33a8, v46
	v_add_f16_e32 v42, v68, v42
	v_fma_f16 v68, v69, 0x2fb7, -v78
	v_add_f16_e32 v62, v64, v62
	v_fma_f16 v64, v72, 0xbbc4, -v74
	v_fmamk_f16 v78, v69, 0xbbc4, v77
	v_mul_f16_e32 v46, 0x3a95, v46
	v_add_f16_e32 v67, v68, v67
	v_mul_f16_e32 v68, 0x3a95, v75
	v_fmac_f16_e32 v74, 0xbbc4, v72
	v_add_f16_e32 v64, v64, v71
	v_add_f16_e32 v71, v78, v73
	v_fmamk_f16 v75, v69, 0x388b, v46
	v_fma_f16 v73, v72, 0x388b, -v68
	v_fmac_f16_e32 v68, 0x388b, v72
	v_fma_f16 v72, v69, 0xbbc4, -v77
	v_fma_f16 v46, v69, 0x388b, -v46
	v_add_f16_e32 v69, v45, v50
	v_sub_f16_e32 v45, v45, v50
	v_add_f16_e32 v63, v74, v63
	v_sub_f16_e32 v74, v36, v38
	v_add_f16_e32 v36, v36, v38
	v_add_f16_e32 v41, v46, v41
	v_mul_f16_e32 v38, 0xb94e, v45
	v_add_f16_e32 v53, v72, v53
	v_mul_f16_e32 v50, 0xb94e, v74
	;; [unrolled: 2-line block ×3, first 2 shown]
	v_fmamk_f16 v46, v36, 0xb9fd, v38
	v_fma_f16 v38, v36, 0xb9fd, -v38
	v_fma_f16 v72, v69, 0xb9fd, -v50
	v_fmac_f16_e32 v50, 0xb9fd, v69
	v_add_f16_e32 v47, v98, v81
	v_add_f16_e32 v46, v46, v39
	v_mul_f16_e32 v39, 0x3bf1, v45
	v_add_f16_e32 v43, v72, v43
	v_fma_f16 v72, v69, 0x2fb7, -v68
	v_add_f16_e32 v50, v50, v59
	v_add_f16_e32 v38, v38, v48
	v_mul_f16_e32 v48, 0xba95, v74
	v_fmamk_f16 v59, v36, 0x2fb7, v39
	v_add_f16_e32 v70, v72, v70
	v_fmac_f16_e32 v68, 0x2fb7, v69
	v_fma_f16 v39, v36, 0x2fb7, -v39
	v_fma_f16 v72, v69, 0x388b, -v48
	v_add_f16_e32 v51, v59, v51
	v_mul_f16_e32 v59, 0xba95, v45
	v_add_f16_e32 v47, v80, v47
	v_add_f16_e32 v60, v68, v60
	;; [unrolled: 1-line block ×4, first 2 shown]
	v_mul_f16_e32 v39, 0x33a8, v74
	v_fmamk_f16 v44, v36, 0x388b, v59
	v_fmac_f16_e32 v48, 0x388b, v69
	v_mul_f16_e32 v72, 0x33a8, v45
	v_add_f16_e32 v47, v79, v47
	v_add_f16_e32 v57, v73, v57
	;; [unrolled: 1-line block ×3, first 2 shown]
	v_fma_f16 v59, v36, 0x388b, -v59
	v_fma_f16 v75, v69, 0xbbc4, -v39
	v_add_f16_e32 v65, v44, v65
	v_add_f16_e32 v48, v48, v61
	v_fmamk_f16 v44, v36, 0xbbc4, v72
	v_fmac_f16_e32 v39, 0xbbc4, v69
	v_mul_f16_e32 v61, 0x3770, v74
	v_add_f16_e32 v59, v59, v66
	v_add_f16_e32 v47, v75, v47
	v_mul_f16_e32 v66, 0x3770, v45
	v_add_f16_e32 v75, v44, v42
	v_fma_f16 v42, v36, 0xbbc4, -v72
	v_add_f16_e32 v62, v39, v62
	v_fma_f16 v39, v69, 0x3b15, -v61
	v_fmac_f16_e32 v61, 0x3b15, v69
	v_fmamk_f16 v44, v36, 0x3b15, v66
	v_add_f16_e32 v67, v42, v67
	v_mul_f16_e32 v42, 0xbb7b, v74
	v_add_f16_e32 v64, v39, v64
	v_add_f16_e32 v61, v61, v63
	v_mul_f16_e32 v39, 0xbb7b, v45
	v_sub_f16_e32 v63, v30, v31
	v_add_f16_e32 v71, v44, v71
	v_fma_f16 v44, v69, 0xb5ac, -v42
	v_fmac_f16_e32 v42, 0xb5ac, v69
	v_fma_f16 v45, v36, 0x3b15, -v66
	v_fmamk_f16 v66, v36, 0xb5ac, v39
	v_add_f16_e32 v69, v33, v34
	v_mul_f16_e32 v72, 0xb3a8, v63
	v_sub_f16_e32 v74, v33, v34
	v_fma_f16 v36, v36, 0xb5ac, -v39
	v_add_f16_e32 v66, v66, v73
	v_add_f16_e32 v73, v30, v31
	v_fma_f16 v33, v69, 0xbbc4, -v72
	v_mul_f16_e32 v30, 0xb3a8, v74
	v_add_f16_e32 v78, v36, v41
	v_mul_f16_e32 v31, 0x3770, v63
	v_fmac_f16_e32 v72, 0xbbc4, v69
	v_add_f16_e32 v39, v33, v43
	v_fmamk_f16 v33, v73, 0xbbc4, v30
	v_mul_f16_e32 v36, 0x3770, v74
	v_fma_f16 v30, v73, 0xbbc4, -v30
	v_fma_f16 v34, v69, 0x3b15, -v31
	v_add_f16_e32 v41, v72, v50
	v_mul_f16_e32 v50, 0xb94e, v74
	v_fmamk_f16 v43, v73, 0x3b15, v36
	v_add_f16_e32 v30, v30, v38
	v_mul_f16_e32 v38, 0xb94e, v63
	v_add_f16_e32 v53, v45, v53
	v_add_f16_e32 v77, v42, v52
	;; [unrolled: 1-line block ×4, first 2 shown]
	v_fmac_f16_e32 v31, 0x3b15, v69
	v_fma_f16 v36, v73, 0x3b15, -v36
	v_fma_f16 v43, v69, 0xb9fd, -v38
	v_fmamk_f16 v45, v73, 0xb9fd, v50
	v_fmac_f16_e32 v38, 0xb9fd, v69
	v_add_f16_e32 v76, v44, v57
	v_add_f16_e32 v33, v33, v46
	;; [unrolled: 1-line block ×8, first 2 shown]
	v_fma_f16 v43, v73, 0xb9fd, -v50
	v_mul_f16_e32 v48, 0x3a95, v63
	v_add_f16_e32 v51, v7, v54
	v_mul_f16_e32 v50, 0x3a95, v74
	v_add_f16_e32 v52, v38, v32
	v_add_f16_e32 v38, v43, v59
	v_fma_f16 v43, v69, 0x388b, -v48
	v_add_f16_e32 v51, v51, v37
	v_fmamk_f16 v56, v73, 0x388b, v50
	v_add_f16_e32 v52, v52, v26
	v_fmac_f16_e32 v48, 0x388b, v69
	v_add_f16_e32 v57, v43, v47
	v_add_f16_e32 v43, v51, v28
	v_add_f16_e32 v47, v56, v75
	v_add_f16_e32 v51, v52, v16
	v_add_f16_e32 v56, v48, v62
	v_fma_f16 v48, v73, 0x388b, -v50
	v_add_f16_e32 v43, v43, v22
	v_mul_f16_e32 v52, 0xbb7b, v63
	v_add_f16_e32 v50, v51, v12
	v_mul_f16_e32 v51, 0xbb7b, v74
	v_mul_f16_e32 v63, 0x3bf1, v63
	v_add_f16_e32 v43, v43, v14
	v_fma_f16 v59, v69, 0xb5ac, -v52
	v_add_f16_e32 v50, v50, v5
	v_fmamk_f16 v60, v73, 0xb5ac, v51
	v_fmac_f16_e32 v52, 0xb5ac, v69
	v_add_f16_e32 v43, v43, v9
	v_fma_f16 v51, v73, 0xb5ac, -v51
	v_add_f16_e32 v62, v50, v6
	v_add_f16_e32 v50, v60, v71
	;; [unrolled: 1-line block ×6, first 2 shown]
	v_mul_f16_e32 v62, 0x3bf1, v74
	v_fma_f16 v61, v69, 0x2fb7, -v63
	v_add_f16_e32 v43, v43, v15
	v_add_f16_e32 v51, v51, v53
	;; [unrolled: 1-line block ×3, first 2 shown]
	v_fmamk_f16 v53, v73, 0x2fb7, v62
	v_fmac_f16_e32 v63, 0x2fb7, v69
	v_add_f16_e32 v43, v43, v25
	v_add_f16_e32 v48, v48, v67
	;; [unrolled: 1-line block ×4, first 2 shown]
	v_fma_f16 v53, v73, 0x2fb7, -v62
	v_add_f16_e32 v43, v43, v29
	v_add_f16_e32 v62, v63, v77
	;; [unrolled: 1-line block ×3, first 2 shown]
	v_sub_f16_e32 v63, v49, v55
	v_add_f16_e32 v61, v61, v76
	v_add_f16_e32 v65, v43, v40
	;; [unrolled: 1-line block ×5, first 2 shown]
	v_mul_f16_e32 v66, 0xb770, v63
	v_add_f16_e32 v55, v49, v55
	v_add_f16_e32 v49, v65, v58
	v_mul_f16_e32 v65, 0xba95, v63
	v_mul_f16_e32 v67, 0xbbf1, v63
	;; [unrolled: 1-line block ×4, first 2 shown]
	v_sub_f16_e32 v54, v54, v58
	v_fma_f16 v58, v64, 0x3b15, -v66
	v_fmac_f16_e32 v66, 0x3b15, v64
	v_fma_f16 v68, v64, 0x388b, -v65
	v_fma_f16 v70, v64, 0x2fb7, -v67
	v_mul_f16_e32 v63, 0xb3a8, v63
	v_fma_f16 v72, v64, 0xb5ac, -v69
	v_fma_f16 v73, v64, 0xb9fd, -v71
	v_fmac_f16_e32 v65, 0x388b, v64
	v_fmac_f16_e32 v67, 0x2fb7, v64
	;; [unrolled: 1-line block ×4, first 2 shown]
	v_fma_f16 v74, v64, 0xbbc4, -v63
	v_fmac_f16_e32 v63, 0xbbc4, v64
	v_add_f16_e32 v64, v7, v66
	v_add_f16_e32 v66, v7, v68
	;; [unrolled: 1-line block ×5, first 2 shown]
	v_mul_f16_e32 v73, 0xb770, v54
	v_mul_f16_e32 v75, 0xba95, v54
	;; [unrolled: 1-line block ×3, first 2 shown]
	v_add_f16_e32 v58, v7, v58
	v_add_f16_e32 v65, v7, v65
	;; [unrolled: 1-line block ×7, first 2 shown]
	v_fmamk_f16 v63, v55, 0x3b15, v73
	v_fma_f16 v73, v55, 0x3b15, -v73
	v_fmamk_f16 v77, v55, 0x388b, v75
	v_mul_f16_e32 v78, 0xbb7b, v54
	v_fmamk_f16 v79, v55, 0x2fb7, v76
	v_mul_f16_e32 v80, 0xb94e, v54
	v_mul_f16_e32 v54, 0xb3a8, v54
	v_fma_f16 v75, v55, 0x388b, -v75
	v_fma_f16 v76, v55, 0x2fb7, -v76
	v_fmamk_f16 v81, v55, 0xb5ac, v78
	v_fma_f16 v78, v55, 0xb5ac, -v78
	v_fmamk_f16 v82, v55, 0xb9fd, v80
	v_fma_f16 v80, v55, 0xb9fd, -v80
	v_fmamk_f16 v83, v55, 0xbbc4, v54
	v_fma_f16 v54, v55, 0xbbc4, -v54
	v_add_f16_e32 v55, v23, v63
	v_add_f16_e32 v63, v23, v73
	;; [unrolled: 1-line block ×4, first 2 shown]
	v_sub_f16_e32 v79, v32, v35
	v_add_f16_e32 v84, v37, v40
	v_sub_f16_e32 v37, v37, v40
	v_add_f16_e32 v32, v32, v35
	v_add_f16_e32 v75, v23, v75
	v_mul_f16_e32 v40, 0xba95, v79
	v_add_f16_e32 v76, v23, v76
	v_mul_f16_e32 v35, 0xba95, v37
	v_add_f16_e32 v81, v23, v81
	v_add_f16_e32 v78, v23, v78
	v_add_f16_e32 v82, v23, v82
	v_fma_f16 v85, v84, 0x388b, -v40
	v_add_f16_e32 v80, v23, v80
	v_add_f16_e32 v83, v23, v83
	;; [unrolled: 1-line block ×3, first 2 shown]
	v_fmamk_f16 v54, v32, 0x388b, v35
	v_add_f16_e32 v58, v85, v58
	v_mul_f16_e32 v85, 0xbb7b, v79
	v_fmac_f16_e32 v40, 0x388b, v84
	v_fma_f16 v35, v32, 0x388b, -v35
	v_add_f16_e32 v54, v54, v55
	v_mul_f16_e32 v55, 0xbb7b, v37
	v_fma_f16 v86, v84, 0xb5ac, -v85
	v_add_f16_e32 v40, v40, v64
	v_add_f16_e32 v35, v35, v63
	v_mul_f16_e32 v63, 0xb3a8, v79
	v_fmamk_f16 v64, v32, 0xb5ac, v55
	v_add_f16_e32 v66, v86, v66
	v_fmac_f16_e32 v85, 0xb5ac, v84
	v_fma_f16 v55, v32, 0xb5ac, -v55
	v_fma_f16 v86, v84, 0xbbc4, -v63
	v_add_f16_e32 v64, v64, v73
	v_mul_f16_e32 v73, 0xb3a8, v37
	v_add_f16_e32 v65, v85, v65
	v_add_f16_e32 v55, v55, v75
	;; [unrolled: 1-line block ×3, first 2 shown]
	v_mul_f16_e32 v75, 0x394e, v79
	v_fmamk_f16 v85, v32, 0xbbc4, v73
	v_fmac_f16_e32 v63, 0xbbc4, v84
	v_fma_f16 v73, v32, 0xbbc4, -v73
	v_mul_f16_e32 v86, 0x394e, v37
	v_fma_f16 v87, v84, 0xb9fd, -v75
	v_add_f16_e32 v77, v85, v77
	v_add_f16_e32 v63, v63, v67
	;; [unrolled: 1-line block ×3, first 2 shown]
	v_fmamk_f16 v73, v32, 0xb9fd, v86
	v_fmac_f16_e32 v75, 0xb9fd, v84
	v_mul_f16_e32 v76, 0x3bf1, v79
	v_mul_f16_e32 v85, 0x3bf1, v37
	;; [unrolled: 1-line block ×3, first 2 shown]
	v_add_f16_e32 v73, v73, v81
	v_fma_f16 v81, v32, 0xb9fd, -v86
	v_add_f16_e32 v69, v75, v69
	v_fma_f16 v75, v84, 0x2fb7, -v76
	v_fmamk_f16 v86, v32, 0x2fb7, v85
	v_fmac_f16_e32 v76, 0x2fb7, v84
	v_mul_f16_e32 v37, 0x3770, v37
	v_add_f16_e32 v78, v81, v78
	v_add_f16_e32 v72, v75, v72
	;; [unrolled: 1-line block ×4, first 2 shown]
	v_fma_f16 v76, v84, 0x3b15, -v79
	v_fmac_f16_e32 v79, 0x3b15, v84
	v_fma_f16 v81, v32, 0x2fb7, -v85
	v_sub_f16_e32 v82, v26, v27
	v_fmamk_f16 v84, v32, 0x3b15, v37
	v_fma_f16 v32, v32, 0x3b15, -v37
	v_add_f16_e32 v37, v28, v29
	v_sub_f16_e32 v28, v28, v29
	v_mul_f16_e32 v29, 0xbbf1, v82
	v_add_f16_e32 v26, v26, v27
	v_add_f16_e32 v74, v76, v74
	;; [unrolled: 1-line block ×3, first 2 shown]
	v_mul_f16_e32 v27, 0xbbf1, v28
	v_fma_f16 v76, v37, 0x2fb7, -v29
	v_fmac_f16_e32 v29, 0x2fb7, v37
	v_add_f16_e32 v7, v79, v7
	v_add_f16_e32 v70, v87, v70
	v_fmamk_f16 v32, v26, 0x2fb7, v27
	v_add_f16_e32 v58, v76, v58
	v_mul_f16_e32 v76, 0xb3a8, v82
	v_fma_f16 v27, v26, 0x2fb7, -v27
	v_add_f16_e32 v29, v29, v40
	v_add_f16_e32 v32, v32, v54
	v_mul_f16_e32 v54, 0xb3a8, v28
	v_fma_f16 v79, v37, 0xbbc4, -v76
	v_add_f16_e32 v27, v27, v35
	v_mul_f16_e32 v35, 0x3b7b, v82
	v_fmac_f16_e32 v76, 0xbbc4, v37
	v_fmamk_f16 v40, v26, 0xbbc4, v54
	v_add_f16_e32 v66, v79, v66
	v_fma_f16 v54, v26, 0xbbc4, -v54
	v_fma_f16 v79, v37, 0xb5ac, -v35
	v_add_f16_e32 v65, v76, v65
	v_add_f16_e32 v40, v40, v64
	v_mul_f16_e32 v64, 0x3b7b, v28
	v_add_f16_e32 v54, v54, v55
	v_add_f16_e32 v55, v79, v68
	v_mul_f16_e32 v68, 0x3770, v82
	v_fmac_f16_e32 v35, 0xb5ac, v37
	v_fmamk_f16 v76, v26, 0xb5ac, v64
	v_fma_f16 v64, v26, 0xb5ac, -v64
	v_mul_f16_e32 v79, 0x3770, v28
	v_add_f16_e32 v80, v81, v80
	v_add_f16_e32 v81, v84, v83
	v_fma_f16 v83, v37, 0x3b15, -v68
	v_add_f16_e32 v35, v35, v63
	v_add_f16_e32 v63, v64, v67
	v_fmamk_f16 v64, v26, 0x3b15, v79
	v_add_f16_e32 v76, v76, v77
	v_add_f16_e32 v67, v83, v70
	v_fmac_f16_e32 v68, 0x3b15, v37
	v_mul_f16_e32 v70, 0xba95, v82
	v_mul_f16_e32 v77, 0xba95, v28
	v_add_f16_e32 v64, v64, v73
	v_fma_f16 v73, v26, 0x3b15, -v79
	v_add_f16_e32 v68, v68, v69
	v_fma_f16 v69, v37, 0x388b, -v70
	v_fmamk_f16 v79, v26, 0x388b, v77
	v_fmac_f16_e32 v70, 0x388b, v37
	v_add_f16_e32 v73, v73, v78
	v_mul_f16_e32 v78, 0xb94e, v82
	v_mul_f16_e32 v28, 0xb94e, v28
	v_add_f16_e32 v69, v69, v72
	v_add_f16_e32 v72, v79, v75
	;; [unrolled: 1-line block ×3, first 2 shown]
	v_fma_f16 v71, v37, 0xb9fd, -v78
	v_fmac_f16_e32 v78, 0xb9fd, v37
	v_fma_f16 v37, v26, 0x388b, -v77
	v_sub_f16_e32 v75, v16, v17
	v_fmamk_f16 v77, v26, 0xb9fd, v28
	v_fma_f16 v26, v26, 0xb9fd, -v28
	v_add_f16_e32 v28, v22, v25
	v_sub_f16_e32 v22, v22, v25
	v_mul_f16_e32 v25, 0xbb7b, v75
	v_add_f16_e32 v16, v16, v17
	v_add_f16_e32 v71, v71, v74
	v_add_f16_e32 v23, v26, v23
	v_mul_f16_e32 v17, 0xbb7b, v22
	v_fma_f16 v74, v28, 0xb5ac, -v25
	v_fmac_f16_e32 v25, 0xb5ac, v28
	v_add_f16_e32 v7, v78, v7
	v_add_f16_e32 v37, v37, v80
	v_fmamk_f16 v26, v16, 0xb5ac, v17
	v_add_f16_e32 v58, v74, v58
	v_mul_f16_e32 v74, 0x394e, v75
	v_fma_f16 v17, v16, 0xb5ac, -v17
	v_add_f16_e32 v25, v25, v29
	v_add_f16_e32 v26, v26, v32
	v_mul_f16_e32 v32, 0x394e, v22
	v_fma_f16 v78, v28, 0xb9fd, -v74
	v_add_f16_e32 v17, v17, v27
	v_mul_f16_e32 v27, 0x3770, v75
	v_fmac_f16_e32 v74, 0xb9fd, v28
	v_fmamk_f16 v29, v16, 0xb9fd, v32
	v_add_f16_e32 v66, v78, v66
	v_fma_f16 v32, v16, 0xb9fd, -v32
	v_fma_f16 v78, v28, 0x3b15, -v27
	v_add_f16_e32 v65, v74, v65
	v_add_f16_e32 v29, v29, v40
	v_mul_f16_e32 v40, 0x3770, v22
	v_add_f16_e32 v32, v32, v54
	v_add_f16_e32 v54, v78, v55
	v_mul_f16_e32 v55, 0xbbf1, v75
	v_fmac_f16_e32 v27, 0x3b15, v28
	v_fmamk_f16 v74, v16, 0x3b15, v40
	v_fma_f16 v40, v16, 0x3b15, -v40
	v_mul_f16_e32 v78, 0xbbf1, v22
	v_fma_f16 v79, v28, 0x2fb7, -v55
	v_add_f16_e32 v27, v27, v35
	v_add_f16_e32 v74, v74, v76
	;; [unrolled: 1-line block ×3, first 2 shown]
	v_fmamk_f16 v40, v16, 0x2fb7, v78
	v_add_f16_e32 v63, v79, v67
	v_fmac_f16_e32 v55, 0x2fb7, v28
	v_mul_f16_e32 v67, 0x33a8, v75
	v_mul_f16_e32 v76, 0x33a8, v22
	v_add_f16_e32 v40, v40, v64
	v_fma_f16 v64, v16, 0x2fb7, -v78
	v_add_f16_e32 v55, v55, v68
	v_fma_f16 v68, v28, 0xbbc4, -v67
	v_fmamk_f16 v78, v16, 0xbbc4, v76
	v_fmac_f16_e32 v67, 0xbbc4, v28
	v_add_f16_e32 v64, v64, v73
	v_mul_f16_e32 v73, 0x3a95, v75
	v_mul_f16_e32 v22, 0x3a95, v22
	v_add_f16_e32 v68, v68, v69
	v_add_f16_e32 v69, v78, v72
	;; [unrolled: 1-line block ×3, first 2 shown]
	v_fma_f16 v70, v28, 0x388b, -v73
	v_fmac_f16_e32 v73, 0x388b, v28
	v_fma_f16 v28, v16, 0xbbc4, -v76
	v_sub_f16_e32 v72, v12, v13
	v_fmamk_f16 v75, v16, 0x388b, v22
	v_fma_f16 v16, v16, 0x388b, -v22
	v_add_f16_e32 v22, v14, v15
	v_sub_f16_e32 v14, v14, v15
	v_mul_f16_e32 v15, 0xb94e, v72
	v_add_f16_e32 v12, v12, v13
	v_add_f16_e32 v28, v28, v37
	v_add_f16_e32 v37, v70, v71
	v_mul_f16_e32 v13, 0xb94e, v14
	v_fma_f16 v70, v22, 0xb9fd, -v15
	v_add_f16_e32 v16, v16, v23
	v_fmac_f16_e32 v15, 0xb9fd, v22
	v_add_f16_e32 v7, v73, v7
	v_fmamk_f16 v23, v12, 0xb9fd, v13
	v_add_f16_e32 v58, v70, v58
	v_mul_f16_e32 v70, 0x3bf1, v72
	v_fma_f16 v13, v12, 0xb9fd, -v13
	v_add_f16_e32 v15, v15, v25
	v_add_f16_e32 v23, v23, v26
	v_mul_f16_e32 v26, 0x3bf1, v14
	v_fma_f16 v73, v22, 0x2fb7, -v70
	v_add_f16_e32 v13, v13, v17
	v_mul_f16_e32 v17, 0xba95, v72
	v_fmac_f16_e32 v70, 0x2fb7, v22
	v_fmamk_f16 v25, v12, 0x2fb7, v26
	v_add_f16_e32 v66, v73, v66
	v_fma_f16 v26, v12, 0x2fb7, -v26
	v_fma_f16 v73, v22, 0x388b, -v17
	v_add_f16_e32 v77, v77, v81
	v_add_f16_e32 v25, v25, v29
	v_mul_f16_e32 v29, 0xba95, v14
	v_add_f16_e32 v65, v70, v65
	v_add_f16_e32 v26, v26, v32
	;; [unrolled: 1-line block ×3, first 2 shown]
	v_mul_f16_e32 v54, 0x33a8, v72
	v_fmamk_f16 v70, v12, 0x388b, v29
	v_fmac_f16_e32 v17, 0x388b, v22
	v_fma_f16 v29, v12, 0x388b, -v29
	v_mul_f16_e32 v73, 0x33a8, v14
	v_add_f16_e32 v71, v75, v77
	v_fma_f16 v75, v22, 0xbbc4, -v54
	v_add_f16_e32 v17, v17, v27
	v_add_f16_e32 v27, v29, v35
	v_fmamk_f16 v29, v12, 0xbbc4, v73
	v_fmac_f16_e32 v54, 0xbbc4, v22
	v_add_f16_e32 v35, v75, v63
	v_mul_f16_e32 v63, 0x3770, v72
	v_add_f16_e32 v70, v70, v74
	v_add_f16_e32 v29, v29, v40
	v_fma_f16 v40, v12, 0xbbc4, -v73
	v_mul_f16_e32 v74, 0x3770, v14
	v_add_f16_e32 v54, v54, v55
	v_fma_f16 v55, v22, 0x3b15, -v63
	v_fmac_f16_e32 v63, 0x3b15, v22
	v_add_f16_e32 v40, v40, v64
	v_mul_f16_e32 v64, 0xbb7b, v72
	v_fmamk_f16 v73, v12, 0x3b15, v74
	v_mul_f16_e32 v14, 0xbb7b, v14
	v_add_f16_e32 v63, v63, v67
	v_add_f16_e32 v55, v55, v68
	v_fma_f16 v67, v22, 0xb5ac, -v64
	v_fmac_f16_e32 v64, 0xb5ac, v22
	v_sub_f16_e32 v22, v5, v6
	v_add_f16_e32 v68, v73, v69
	v_fma_f16 v69, v12, 0x3b15, -v74
	v_fmamk_f16 v72, v12, 0xb5ac, v14
	v_fma_f16 v12, v12, 0xb5ac, -v14
	v_add_f16_e32 v14, v9, v10
	v_mul_f16_e32 v73, 0xb3a8, v22
	v_sub_f16_e32 v9, v9, v10
	v_add_f16_e32 v10, v67, v37
	v_add_f16_e32 v5, v5, v6
	;; [unrolled: 1-line block ×3, first 2 shown]
	v_fma_f16 v67, v14, 0xbbc4, -v73
	v_mul_f16_e32 v6, 0xb3a8, v9
	v_add_f16_e32 v28, v69, v28
	v_add_f16_e32 v7, v64, v7
	;; [unrolled: 1-line block ×4, first 2 shown]
	v_mul_f16_e32 v58, 0x3770, v22
	v_fmamk_f16 v64, v5, 0xbbc4, v6
	v_fma_f16 v6, v5, 0xbbc4, -v6
	v_mul_f16_e32 v67, 0x3770, v9
	v_fmac_f16_e32 v73, 0xbbc4, v14
	v_fma_f16 v69, v14, 0x3b15, -v58
	v_add_f16_e32 v23, v64, v23
	v_add_f16_e32 v6, v6, v13
	v_fmamk_f16 v13, v5, 0x3b15, v67
	v_fmac_f16_e32 v58, 0x3b15, v14
	v_add_f16_e32 v64, v69, v66
	v_mul_f16_e32 v66, 0xb94e, v22
	v_fma_f16 v67, v5, 0x3b15, -v67
	v_add_f16_e32 v13, v13, v25
	v_mul_f16_e32 v25, 0xb94e, v9
	v_add_f16_e32 v58, v58, v65
	v_fma_f16 v65, v14, 0xb9fd, -v66
	v_add_f16_e32 v67, v67, v26
	v_mul_f16_e32 v26, 0x3a95, v22
	v_fmac_f16_e32 v66, 0xb9fd, v14
	v_fmamk_f16 v69, v5, 0xb9fd, v25
	v_add_f16_e32 v32, v65, v32
	v_fma_f16 v25, v5, 0xb9fd, -v25
	v_fma_f16 v65, v14, 0x388b, -v26
	v_add_f16_e32 v17, v66, v17
	v_mul_f16_e32 v66, 0x3a95, v9
	v_add_f16_e32 v69, v69, v70
	v_add_f16_e32 v70, v25, v27
	v_add_f16_e32 v25, v65, v35
	v_mul_f16_e32 v35, 0xbb7b, v9
	v_fmamk_f16 v65, v5, 0x388b, v66
	v_mul_f16_e32 v9, 0x3bf1, v9
	v_fma_f16 v66, v5, 0x388b, -v66
	v_mul_f16_e32 v27, 0xbb7b, v22
	v_fmamk_f16 v72, v5, 0xb5ac, v35
	v_add_f16_e32 v29, v65, v29
	v_fma_f16 v35, v5, 0xb5ac, -v35
	v_lshrrev_b32_e32 v65, 1, v24
	v_fma_f16 v71, v14, 0xb5ac, -v27
	v_fmac_f16_e32 v27, 0xb5ac, v14
	v_mul_f16_e32 v22, 0x3bf1, v22
	v_add_f16_e32 v35, v35, v28
	v_mul_u32_u24_e32 v28, 26, v65
	v_fmamk_f16 v65, v5, 0x2fb7, v9
	v_fma_f16 v5, v5, 0x2fb7, -v9
	v_fmac_f16_e32 v26, 0x388b, v14
	v_add_f16_e32 v27, v27, v63
	v_or_b32_e32 v9, v28, v4
	v_fma_f16 v63, v14, 0x2fb7, -v22
	v_add_f16_e32 v12, v5, v12
	v_fmac_f16_e32 v22, 0x2fb7, v14
	v_add_f16_e32 v15, v73, v15
	v_lshl_add_u32 v5, v9, 1, 0
	v_lshrrev_b32_e32 v9, 1, v3
	v_add_f16_e32 v26, v26, v54
	v_add_f16_e32 v54, v71, v55
	;; [unrolled: 1-line block ×4, first 2 shown]
	v_mul_u32_u24_e32 v9, 26, v9
	ds_write_b16 v5, v11
	ds_write_b16 v5, v39 offset:4
	ds_write_b16 v5, v42 offset:8
	;; [unrolled: 1-line block ×8, first 2 shown]
	v_add_f16_e32 v55, v72, v68
	v_or_b32_e32 v4, v9, v4
	v_add_f16_e32 v14, v65, v37
	v_add_f16_e32 v40, v66, v40
	v_lshl_add_u32 v9, v4, 1, 0
	ds_write_b16 v5, v56 offset:36
	ds_write_b16 v5, v45 offset:40
	;; [unrolled: 1-line block ×4, first 2 shown]
	ds_write_b16 v9, v49
	ds_write_b16 v9, v16 offset:4
	ds_write_b16 v9, v64 offset:8
	;; [unrolled: 1-line block ×12, first 2 shown]
	v_subrev_nc_u32_e32 v25, 26, v24
	s_waitcnt lgkmcnt(0)
	s_barrier
	buffer_gl0_inv
	ds_read_u16 v26, v2
	ds_read_u16 v16, v2 offset:832
	ds_read_u16 v17, v2 offset:1664
	ds_read_u16 v44, v2 offset:728
	ds_read_u16 v22, v2 offset:624
	ds_read_u16 v45, v2 offset:520
	ds_read_u16 v46, v2 offset:416
	ds_read_u16 v49, v2 offset:312
	ds_read_u16 v54, v2 offset:208
	ds_read_u16 v27, v2 offset:104
	ds_read_u16 v59, v2 offset:1560
	ds_read_u16 v56, v2 offset:1456
	ds_read_u16 v62, v2 offset:1352
	ds_read_u16 v60, v2 offset:1248
	ds_read_u16 v63, v2 offset:1144
	ds_read_u16 v57, v2 offset:1040
	ds_read_u16 v64, v2 offset:936
	ds_read_u16 v85, v2 offset:2392
	ds_read_u16 v83, v2 offset:2288
	ds_read_u16 v86, v2 offset:2184
	ds_read_u16 v76, v2 offset:2080
	ds_read_u16 v87, v2 offset:1976
	ds_read_u16 v72, v2 offset:1872
	ds_read_u16 v88, v2 offset:1768
	ds_read_u16 v84, v2 offset:2496
	ds_read_u16 v89, v2 offset:2600
	v_cndmask_b32_e64 v28, v25, v24, s0
	s_waitcnt lgkmcnt(0)
	s_barrier
	buffer_gl0_inv
	ds_write_b16 v5, v8
	ds_write_b16 v5, v33 offset:4
	ds_write_b16 v5, v34 offset:8
	;; [unrolled: 1-line block ×12, first 2 shown]
	v_mul_i32_i24_e32 v4, 12, v28
	v_mov_b32_e32 v5, 0
	ds_write_b16 v9, v43
	ds_write_b16 v9, v23 offset:4
	ds_write_b16 v9, v13 offset:8
	;; [unrolled: 1-line block ×12, first 2 shown]
	v_lshlrev_b64 v[4:5], 2, v[4:5]
	s_waitcnt lgkmcnt(0)
	s_barrier
	buffer_gl0_inv
	v_and_b32_e32 v14, 0xff, v3
	v_lshlrev_b32_e32 v28, 1, v28
	v_add_co_u32 v12, s1, s8, v4
	v_add_co_ci_u32_e64 v13, s1, s9, v5, s1
	v_mul_lo_u16 v14, 0x4f, v14
	v_cmp_lt_u32_e64 s1, 25, v24
	s_clause 0x1
	global_load_dwordx4 v[4:7], v[12:13], off offset:96
	global_load_dwordx4 v[8:11], v[12:13], off offset:112
	v_lshrrev_b16 v29, 11, v14
	v_mul_lo_u16 v14, v29, 26
	v_sub_nc_u16 v30, v3, v14
	v_mov_b32_e32 v3, 12
	global_load_dwordx4 v[12:15], v[12:13], off offset:128
	v_mul_u32_u24_sdwa v3, v30, v3 dst_sel:DWORD dst_unused:UNUSED_PAD src0_sel:BYTE_0 src1_sel:DWORD
	v_lshlrev_b32_e32 v3, 2, v3
	s_clause 0x2
	global_load_dwordx4 v[31:34], v3, s[8:9] offset:96
	global_load_dwordx4 v[35:38], v3, s[8:9] offset:112
	;; [unrolled: 1-line block ×3, first 2 shown]
	ds_read_u16 v23, v2 offset:208
	ds_read_u16 v43, v2 offset:416
	;; [unrolled: 1-line block ×8, first 2 shown]
	s_waitcnt vmcnt(5) lgkmcnt(7)
	v_mul_f16_sdwa v53, v23, v4 dst_sel:DWORD dst_unused:UNUSED_PAD src0_sel:DWORD src1_sel:WORD_1
	v_mul_f16_sdwa v81, v54, v4 dst_sel:DWORD dst_unused:UNUSED_PAD src0_sel:DWORD src1_sel:WORD_1
	s_waitcnt lgkmcnt(6)
	v_mul_f16_sdwa v55, v43, v5 dst_sel:DWORD dst_unused:UNUSED_PAD src0_sel:DWORD src1_sel:WORD_1
	v_mul_f16_sdwa v79, v46, v5 dst_sel:DWORD dst_unused:UNUSED_PAD src0_sel:DWORD src1_sel:WORD_1
	;; [unrolled: 1-line block ×3, first 2 shown]
	v_fma_f16 v82, v54, v4, -v53
	v_fmac_f16_e32 v81, v23, v4
	s_waitcnt lgkmcnt(5)
	v_mul_f16_sdwa v4, v47, v6 dst_sel:DWORD dst_unused:UNUSED_PAD src0_sel:DWORD src1_sel:WORD_1
	ds_read_u16 v54, v2 offset:1560
	ds_read_u16 v53, v2 offset:1456
	;; [unrolled: 1-line block ×6, first 2 shown]
	v_fma_f16 v80, v46, v5, -v55
	ds_read_u16 v23, v2 offset:936
	v_fmac_f16_e32 v79, v43, v5
	v_fma_f16 v74, v22, v6, -v4
	s_waitcnt lgkmcnt(11)
	v_mul_f16_sdwa v4, v48, v7 dst_sel:DWORD dst_unused:UNUSED_PAD src0_sel:DWORD src1_sel:WORD_1
	v_mul_f16_sdwa v73, v22, v6 dst_sel:DWORD dst_unused:UNUSED_PAD src0_sel:DWORD src1_sel:WORD_1
	ds_read_u16 v5, v2 offset:1664
	ds_read_u16 v43, v2 offset:1768
	;; [unrolled: 1-line block ×8, first 2 shown]
	v_fmac_f16_e32 v69, v48, v7
	s_waitcnt vmcnt(4)
	v_mul_f16_sdwa v65, v57, v8 dst_sel:DWORD dst_unused:UNUSED_PAD src0_sel:DWORD src1_sel:WORD_1
	v_fma_f16 v70, v16, v7, -v4
	ds_read_u16 v7, v2 offset:2496
	v_fmac_f16_e32 v73, v47, v6
	ds_read_u16 v47, v2 offset:2600
	v_mul_f16_sdwa v67, v17, v11 dst_sel:DWORD dst_unused:UNUSED_PAD src0_sel:DWORD src1_sel:WORD_1
	s_waitcnt vmcnt(3)
	v_mul_f16_sdwa v71, v72, v12 dst_sel:DWORD dst_unused:UNUSED_PAD src0_sel:DWORD src1_sel:WORD_1
	v_mul_f16_sdwa v75, v76, v13 dst_sel:DWORD dst_unused:UNUSED_PAD src0_sel:DWORD src1_sel:WORD_1
	;; [unrolled: 1-line block ×3, first 2 shown]
	s_waitcnt lgkmcnt(13)
	v_mul_f16_sdwa v4, v61, v9 dst_sel:DWORD dst_unused:UNUSED_PAD src0_sel:DWORD src1_sel:WORD_1
	s_waitcnt lgkmcnt(11)
	v_mul_f16_sdwa v6, v58, v8 dst_sel:DWORD dst_unused:UNUSED_PAD src0_sel:DWORD src1_sel:WORD_1
	v_fmac_f16_e32 v65, v58, v8
	s_waitcnt lgkmcnt(9)
	v_fmac_f16_e32 v67, v5, v11
	v_mul_f16_sdwa v58, v56, v10 dst_sel:DWORD dst_unused:UNUSED_PAD src0_sel:DWORD src1_sel:WORD_1
	s_waitcnt lgkmcnt(6)
	v_fmac_f16_e32 v78, v22, v14
	v_fma_f16 v66, v57, v8, -v6
	v_mul_f16_sdwa v57, v60, v9 dst_sel:DWORD dst_unused:UNUSED_PAD src0_sel:DWORD src1_sel:WORD_1
	v_mul_f16_sdwa v6, v53, v10 dst_sel:DWORD dst_unused:UNUSED_PAD src0_sel:DWORD src1_sel:WORD_1
	;; [unrolled: 1-line block ×3, first 2 shown]
	v_fma_f16 v60, v60, v9, -v4
	s_waitcnt lgkmcnt(2)
	v_mul_f16_sdwa v4, v77, v12 dst_sel:DWORD dst_unused:UNUSED_PAD src0_sel:DWORD src1_sel:WORD_1
	s_waitcnt lgkmcnt(1)
	v_mul_f16_sdwa v5, v7, v15 dst_sel:DWORD dst_unused:UNUSED_PAD src0_sel:DWORD src1_sel:WORD_1
	v_fmac_f16_e32 v57, v61, v9
	v_fma_f16 v61, v56, v10, -v6
	v_mul_f16_sdwa v6, v55, v13 dst_sel:DWORD dst_unused:UNUSED_PAD src0_sel:DWORD src1_sel:WORD_1
	v_fmac_f16_e32 v71, v77, v12
	v_mul_f16_sdwa v77, v84, v15 dst_sel:DWORD dst_unused:UNUSED_PAD src0_sel:DWORD src1_sel:WORD_1
	v_fma_f16 v84, v84, v15, -v5
	s_waitcnt vmcnt(2)
	v_mul_f16_sdwa v5, v50, v33 dst_sel:DWORD dst_unused:UNUSED_PAD src0_sel:DWORD src1_sel:WORD_1
	v_fma_f16 v72, v72, v12, -v4
	v_fma_f16 v76, v76, v13, -v6
	v_fmac_f16_e32 v75, v55, v13
	v_mul_f16_sdwa v4, v22, v14 dst_sel:DWORD dst_unused:UNUSED_PAD src0_sel:DWORD src1_sel:WORD_1
	v_mul_f16_sdwa v6, v52, v31 dst_sel:DWORD dst_unused:UNUSED_PAD src0_sel:DWORD src1_sel:WORD_1
	;; [unrolled: 1-line block ×3, first 2 shown]
	v_fma_f16 v16, v44, v33, -v5
	s_waitcnt vmcnt(1)
	v_mul_f16_sdwa v5, v91, v35 dst_sel:DWORD dst_unused:UNUSED_PAD src0_sel:DWORD src1_sel:WORD_1
	v_fma_f16 v83, v83, v14, -v4
	v_fmac_f16_e32 v77, v7, v15
	v_fma_f16 v56, v49, v31, -v6
	v_mul_f16_sdwa v4, v51, v32 dst_sel:DWORD dst_unused:UNUSED_PAD src0_sel:DWORD src1_sel:WORD_1
	v_mul_f16_sdwa v22, v45, v32 dst_sel:DWORD dst_unused:UNUSED_PAD src0_sel:DWORD src1_sel:WORD_1
	v_fmac_f16_e32 v55, v52, v31
	v_fma_f16 v9, v63, v35, -v5
	v_mul_f16_sdwa v5, v59, v37 dst_sel:DWORD dst_unused:UNUSED_PAD src0_sel:DWORD src1_sel:WORD_1
	s_waitcnt vmcnt(0)
	v_mul_f16_sdwa v31, v92, v40 dst_sel:DWORD dst_unused:UNUSED_PAD src0_sel:DWORD src1_sel:WORD_1
	v_fmac_f16_e32 v58, v53, v10
	v_mul_f16_sdwa v15, v44, v33 dst_sel:DWORD dst_unused:UNUSED_PAD src0_sel:DWORD src1_sel:WORD_1
	v_fma_f16 v53, v45, v32, -v4
	v_fmac_f16_e32 v22, v51, v32
	v_mul_f16_sdwa v4, v23, v34 dst_sel:DWORD dst_unused:UNUSED_PAD src0_sel:DWORD src1_sel:WORD_1
	v_mul_f16_sdwa v12, v64, v34 dst_sel:DWORD dst_unused:UNUSED_PAD src0_sel:DWORD src1_sel:WORD_1
	;; [unrolled: 1-line block ×3, first 2 shown]
	v_fmac_f16_e32 v5, v54, v37
	v_mul_f16_sdwa v32, v46, v41 dst_sel:DWORD dst_unused:UNUSED_PAD src0_sel:DWORD src1_sel:WORD_1
	v_fma_f16 v54, v86, v40, -v31
	v_sub_f16_e32 v31, v81, v77
	v_fma_f16 v68, v17, v11, -v8
	v_fmac_f16_e32 v15, v50, v33
	v_mul_f16_sdwa v8, v63, v35 dst_sel:DWORD dst_unused:UNUSED_PAD src0_sel:DWORD src1_sel:WORD_1
	v_mul_f16_sdwa v6, v90, v36 dst_sel:DWORD dst_unused:UNUSED_PAD src0_sel:DWORD src1_sel:WORD_1
	v_fma_f16 v13, v64, v34, -v4
	v_fmac_f16_e32 v12, v23, v34
	v_mul_f16_sdwa v4, v62, v36 dst_sel:DWORD dst_unused:UNUSED_PAD src0_sel:DWORD src1_sel:WORD_1
	v_mul_f16_sdwa v11, v43, v38 dst_sel:DWORD dst_unused:UNUSED_PAD src0_sel:DWORD src1_sel:WORD_1
	;; [unrolled: 1-line block ×3, first 2 shown]
	v_fma_f16 v7, v59, v37, -v7
	v_mul_f16_sdwa v23, v86, v40 dst_sel:DWORD dst_unused:UNUSED_PAD src0_sel:DWORD src1_sel:WORD_1
	v_fma_f16 v59, v85, v41, -v32
	s_waitcnt lgkmcnt(0)
	v_mul_f16_sdwa v32, v47, v42 dst_sel:DWORD dst_unused:UNUSED_PAD src0_sel:DWORD src1_sel:WORD_1
	v_mul_f16_sdwa v63, v89, v42 dst_sel:DWORD dst_unused:UNUSED_PAD src0_sel:DWORD src1_sel:WORD_1
	v_add_f16_e32 v33, v82, v84
	v_mul_f16_e32 v34, 0xb770, v31
	v_fmac_f16_e32 v8, v91, v35
	v_fma_f16 v6, v62, v36, -v6
	v_fmac_f16_e32 v4, v90, v36
	v_fma_f16 v11, v88, v38, -v11
	v_fmac_f16_e32 v10, v43, v38
	v_mul_f16_sdwa v17, v93, v39 dst_sel:DWORD dst_unused:UNUSED_PAD src0_sel:DWORD src1_sel:WORD_1
	v_mul_f16_sdwa v14, v87, v39 dst_sel:DWORD dst_unused:UNUSED_PAD src0_sel:DWORD src1_sel:WORD_1
	v_fmac_f16_e32 v23, v92, v40
	v_mul_f16_sdwa v62, v85, v41 dst_sel:DWORD dst_unused:UNUSED_PAD src0_sel:DWORD src1_sel:WORD_1
	v_fma_f16 v64, v89, v42, -v32
	v_mul_f16_e32 v32, 0xba95, v31
	v_fmac_f16_e32 v63, v47, v42
	v_fma_f16 v35, v33, 0x3b15, -v34
	v_mul_f16_e32 v36, 0xbbf1, v31
	v_mul_f16_e32 v38, 0xbb7b, v31
	;; [unrolled: 1-line block ×4, first 2 shown]
	v_sub_f16_e32 v42, v79, v78
	v_fma_f16 v17, v87, v39, -v17
	v_fmac_f16_e32 v14, v93, v39
	v_fmac_f16_e32 v62, v46, v41
	;; [unrolled: 1-line block ×3, first 2 shown]
	v_fma_f16 v37, v33, 0x388b, -v32
	v_fmac_f16_e32 v32, 0x388b, v33
	v_fma_f16 v39, v33, 0x2fb7, -v36
	v_fmac_f16_e32 v36, 0x2fb7, v33
	;; [unrolled: 2-line block ×4, first 2 shown]
	v_add_f16_e32 v44, v80, v83
	v_mul_f16_e32 v45, 0xba95, v42
	v_fma_f16 v46, v33, 0xbbc4, -v31
	v_fmac_f16_e32 v31, 0xbbc4, v33
	v_add_f16_e32 v33, v26, v35
	v_mul_f16_e32 v35, 0xbb7b, v42
	v_fma_f16 v47, v44, 0x388b, -v45
	v_add_f16_e32 v34, v26, v34
	v_fmac_f16_e32 v45, 0x388b, v44
	v_add_f16_e32 v37, v26, v37
	v_fma_f16 v48, v44, 0xb5ac, -v35
	v_add_f16_e32 v32, v26, v32
	v_fmac_f16_e32 v35, 0xb5ac, v44
	v_add_f16_e32 v33, v47, v33
	v_mul_f16_e32 v47, 0xb3a8, v42
	v_add_f16_e32 v34, v45, v34
	v_add_f16_e32 v37, v48, v37
	v_mul_f16_e32 v45, 0x394e, v42
	v_mul_f16_e32 v48, 0x3bf1, v42
	v_add_f16_e32 v32, v35, v32
	v_add_f16_e32 v35, v26, v39
	v_fma_f16 v39, v44, 0xbbc4, -v47
	v_add_f16_e32 v41, v26, v41
	v_fma_f16 v49, v44, 0xb9fd, -v45
	;; [unrolled: 2-line block ×3, first 2 shown]
	v_add_f16_e32 v36, v26, v36
	v_fmac_f16_e32 v47, 0xbbc4, v44
	v_add_f16_e32 v38, v26, v38
	v_fmac_f16_e32 v45, 0xb9fd, v44
	v_add_f16_e32 v35, v39, v35
	v_add_f16_e32 v39, v49, v41
	;; [unrolled: 1-line block ×3, first 2 shown]
	v_sub_f16_e32 v43, v73, v75
	v_add_f16_e32 v36, v47, v36
	v_add_f16_e32 v38, v45, v38
	;; [unrolled: 1-line block ×3, first 2 shown]
	v_mul_f16_e32 v42, 0x3770, v42
	v_fmac_f16_e32 v48, 0x2fb7, v44
	v_add_f16_e32 v45, v26, v46
	v_add_f16_e32 v46, v74, v76
	v_mul_f16_e32 v47, 0xbbf1, v43
	v_fma_f16 v49, v44, 0x3b15, -v42
	v_add_f16_e32 v40, v48, v40
	v_fmac_f16_e32 v42, 0x3b15, v44
	v_add_f16_e32 v31, v26, v31
	v_fma_f16 v44, v46, 0x2fb7, -v47
	v_fmac_f16_e32 v47, 0x2fb7, v46
	v_mul_f16_e32 v48, 0xb3a8, v43
	v_add_f16_e32 v45, v49, v45
	v_add_f16_e32 v31, v42, v31
	;; [unrolled: 1-line block ×3, first 2 shown]
	v_mul_f16_e32 v42, 0x3b7b, v43
	v_add_f16_e32 v34, v47, v34
	v_fma_f16 v44, v46, 0xbbc4, -v48
	v_mul_f16_e32 v47, 0x3770, v43
	v_fmac_f16_e32 v48, 0xbbc4, v46
	v_fma_f16 v49, v46, 0xb5ac, -v42
	v_fmac_f16_e32 v42, 0xb5ac, v46
	v_add_f16_e32 v37, v44, v37
	v_fma_f16 v44, v46, 0x3b15, -v47
	v_add_f16_e32 v32, v48, v32
	v_add_f16_e32 v50, v70, v72
	;; [unrolled: 1-line block ×3, first 2 shown]
	v_mul_f16_e32 v42, 0xba95, v43
	v_add_f16_e32 v39, v44, v39
	v_sub_f16_e32 v44, v69, v71
	v_mul_f16_e32 v43, 0xb94e, v43
	v_add_f16_e32 v35, v49, v35
	v_fma_f16 v48, v46, 0x388b, -v42
	v_fmac_f16_e32 v42, 0x388b, v46
	v_mul_f16_e32 v51, 0xbb7b, v44
	v_fmac_f16_e32 v47, 0x3b15, v46
	v_fma_f16 v49, v46, 0xb9fd, -v43
	v_fmac_f16_e32 v43, 0xb9fd, v46
	v_add_f16_e32 v40, v42, v40
	v_fma_f16 v42, v50, 0xb5ac, -v51
	v_mul_f16_e32 v46, 0x394e, v44
	v_add_f16_e32 v38, v47, v38
	v_add_f16_e32 v31, v43, v31
	v_mul_f16_e32 v47, 0xbbf1, v44
	v_add_f16_e32 v33, v42, v33
	v_mul_f16_e32 v42, 0x3770, v44
	v_fma_f16 v43, v50, 0xb9fd, -v46
	v_add_f16_e32 v41, v48, v41
	v_fmac_f16_e32 v51, 0xb5ac, v50
	v_fmac_f16_e32 v46, 0xb9fd, v50
	v_fma_f16 v48, v50, 0x3b15, -v42
	v_fmac_f16_e32 v42, 0x3b15, v50
	v_add_f16_e32 v37, v43, v37
	v_fma_f16 v43, v50, 0x2fb7, -v47
	v_add_f16_e32 v45, v49, v45
	v_add_f16_e32 v34, v51, v34
	;; [unrolled: 1-line block ×3, first 2 shown]
	v_mul_f16_e32 v42, 0x33a8, v44
	v_add_f16_e32 v39, v43, v39
	v_mul_f16_e32 v43, 0x3a95, v44
	v_sub_f16_e32 v44, v65, v67
	v_add_f16_e32 v32, v46, v32
	v_fma_f16 v46, v50, 0xbbc4, -v42
	v_fmac_f16_e32 v42, 0xbbc4, v50
	v_add_f16_e32 v49, v66, v68
	v_mul_f16_e32 v51, 0xb94e, v44
	v_add_f16_e32 v35, v48, v35
	v_fmac_f16_e32 v47, 0x2fb7, v50
	v_fma_f16 v48, v50, 0x388b, -v43
	v_fmac_f16_e32 v43, 0x388b, v50
	v_add_f16_e32 v41, v46, v41
	v_add_f16_e32 v40, v42, v40
	v_fma_f16 v42, v49, 0xb9fd, -v51
	v_mul_f16_e32 v46, 0x3bf1, v44
	v_add_f16_e32 v38, v47, v38
	v_add_f16_e32 v31, v43, v31
	v_mul_f16_e32 v47, 0x33a8, v44
	v_add_f16_e32 v33, v42, v33
	v_mul_f16_e32 v42, 0xba95, v44
	v_fma_f16 v43, v49, 0x2fb7, -v46
	v_add_f16_e32 v45, v48, v45
	v_fmac_f16_e32 v51, 0xb9fd, v49
	v_fmac_f16_e32 v46, 0x2fb7, v49
	v_fma_f16 v48, v49, 0x388b, -v42
	v_fmac_f16_e32 v42, 0x388b, v49
	v_add_f16_e32 v37, v43, v37
	v_fma_f16 v43, v49, 0xbbc4, -v47
	v_add_f16_e32 v34, v51, v34
	v_add_f16_e32 v32, v46, v32
	;; [unrolled: 1-line block ×3, first 2 shown]
	v_mul_f16_e32 v42, 0x3770, v44
	v_add_f16_e32 v39, v43, v39
	v_mul_f16_e32 v43, 0xbb7b, v44
	v_sub_f16_e32 v44, v57, v58
	v_add_f16_e32 v50, v60, v61
	v_fma_f16 v46, v49, 0x3b15, -v42
	v_fmac_f16_e32 v42, 0x3b15, v49
	v_add_f16_e32 v35, v48, v35
	v_mul_f16_e32 v51, 0xb3a8, v44
	v_fmac_f16_e32 v47, 0xbbc4, v49
	v_fma_f16 v48, v49, 0xb5ac, -v43
	v_fmac_f16_e32 v43, 0xb5ac, v49
	v_add_f16_e32 v41, v46, v41
	v_add_f16_e32 v40, v42, v40
	v_fma_f16 v42, v50, 0xbbc4, -v51
	v_mul_f16_e32 v46, 0x3770, v44
	v_add_f16_e32 v38, v47, v38
	v_add_f16_e32 v31, v43, v31
	v_mul_f16_e32 v47, 0x3a95, v44
	v_add_f16_e32 v33, v42, v33
	v_mul_f16_e32 v42, 0xb94e, v44
	v_fma_f16 v43, v50, 0x3b15, -v46
	v_add_f16_e32 v45, v48, v45
	v_fmac_f16_e32 v51, 0xbbc4, v50
	v_fmac_f16_e32 v46, 0x3b15, v50
	v_fma_f16 v48, v50, 0xb9fd, -v42
	v_fmac_f16_e32 v42, 0xb9fd, v50
	v_add_f16_e32 v37, v43, v37
	v_fma_f16 v43, v50, 0x388b, -v47
	v_add_f16_e32 v34, v51, v34
	v_add_f16_e32 v32, v46, v32
	;; [unrolled: 1-line block ×3, first 2 shown]
	v_mul_f16_e32 v42, 0xbb7b, v44
	v_add_f16_e32 v39, v43, v39
	v_mul_f16_e32 v43, 0x3bf1, v44
	v_sub_f16_e32 v44, v55, v63
	v_add_f16_e32 v35, v48, v35
	v_fmac_f16_e32 v47, 0x388b, v50
	v_fma_f16 v46, v50, 0xb5ac, -v42
	v_fmac_f16_e32 v42, 0xb5ac, v50
	v_fma_f16 v48, v50, 0x2fb7, -v43
	v_add_f16_e32 v49, v56, v64
	v_mul_f16_e32 v51, 0xbbf1, v44
	v_fmac_f16_e32 v43, 0x2fb7, v50
	v_sub_f16_e32 v50, v22, v62
	v_add_f16_e32 v38, v47, v38
	v_add_f16_e32 v41, v46, v41
	v_fma_f16 v46, v49, 0x2fb7, -v51
	v_add_f16_e32 v47, v53, v59
	v_mul_f16_e32 v52, 0xb3a8, v50
	v_add_f16_e32 v40, v42, v40
	v_fmac_f16_e32 v51, 0x2fb7, v49
	v_add_f16_e32 v42, v48, v45
	v_add_f16_e32 v45, v27, v46
	v_fma_f16 v46, v47, 0xbbc4, -v52
	v_mul_f16_e32 v48, 0xbb7b, v44
	v_add_f16_e32 v51, v27, v51
	v_fmac_f16_e32 v52, 0xbbc4, v47
	v_add_f16_e32 v31, v43, v31
	v_add_f16_e32 v43, v46, v45
	v_mul_f16_e32 v46, 0xb94e, v44
	v_fma_f16 v45, v49, 0xb5ac, -v48
	v_add_f16_e32 v51, v52, v51
	v_mul_f16_e32 v52, 0x394e, v50
	v_fmac_f16_e32 v48, 0xb5ac, v49
	v_fma_f16 v85, v49, 0xb9fd, -v46
	v_mul_f16_e32 v86, 0x3bf1, v50
	v_add_f16_e32 v45, v27, v45
	v_fma_f16 v87, v47, 0xb9fd, -v52
	v_add_f16_e32 v48, v27, v48
	v_fmac_f16_e32 v52, 0xb9fd, v47
	v_add_f16_e32 v85, v27, v85
	v_fma_f16 v88, v47, 0x2fb7, -v86
	v_fmac_f16_e32 v46, 0xb9fd, v49
	v_mul_f16_e32 v89, 0xb3a8, v44
	v_add_f16_e32 v45, v87, v45
	v_add_f16_e32 v48, v52, v48
	;; [unrolled: 1-line block ×4, first 2 shown]
	v_fma_f16 v85, v49, 0xbbc4, -v89
	v_mul_f16_e32 v87, 0x3770, v50
	v_fmac_f16_e32 v89, 0xbbc4, v49
	v_fmac_f16_e32 v86, 0x2fb7, v47
	v_sub_f16_e32 v88, v15, v23
	v_add_f16_e32 v85, v27, v85
	v_fma_f16 v90, v47, 0x3b15, -v87
	v_add_f16_e32 v89, v27, v89
	v_add_f16_e32 v91, v16, v54
	v_mul_f16_e32 v92, 0x3b7b, v88
	v_fmac_f16_e32 v87, 0x3b15, v47
	v_add_f16_e32 v46, v86, v46
	v_mul_f16_e32 v86, 0x3770, v88
	v_add_f16_e32 v85, v90, v85
	v_fma_f16 v90, v91, 0xb5ac, -v92
	v_add_f16_e32 v87, v87, v89
	v_fmac_f16_e32 v92, 0xb5ac, v91
	v_mul_f16_e32 v89, 0xba95, v88
	v_fma_f16 v93, v91, 0x3b15, -v86
	v_fmac_f16_e32 v86, 0x3b15, v91
	v_add_f16_e32 v43, v90, v43
	v_add_f16_e32 v51, v92, v51
	v_fma_f16 v90, v91, 0x388b, -v89
	v_mul_f16_e32 v92, 0xb94e, v88
	v_add_f16_e32 v48, v86, v48
	v_sub_f16_e32 v86, v12, v14
	v_fmac_f16_e32 v89, 0x388b, v91
	v_add_f16_e32 v45, v93, v45
	v_add_f16_e32 v52, v90, v52
	v_fma_f16 v90, v91, 0xb9fd, -v92
	v_add_f16_e32 v93, v13, v17
	v_mul_f16_e32 v94, 0x3770, v86
	v_fmac_f16_e32 v92, 0xb9fd, v91
	v_add_f16_e32 v46, v89, v46
	v_mul_f16_e32 v89, 0xbbf1, v86
	v_add_f16_e32 v85, v90, v85
	v_fma_f16 v90, v93, 0x3b15, -v94
	v_add_f16_e32 v87, v92, v87
	v_fmac_f16_e32 v94, 0x3b15, v93
	v_mul_f16_e32 v92, 0x33a8, v86
	v_fma_f16 v95, v93, 0x2fb7, -v89
	v_fmac_f16_e32 v89, 0x2fb7, v93
	v_add_f16_e32 v43, v90, v43
	v_add_f16_e32 v51, v94, v51
	v_fma_f16 v90, v93, 0xbbc4, -v92
	v_mul_f16_e32 v94, 0x3a95, v86
	v_add_f16_e32 v48, v89, v48
	v_sub_f16_e32 v89, v8, v10
	v_add_f16_e32 v45, v95, v45
	v_add_f16_e32 v52, v90, v52
	v_fmac_f16_e32 v92, 0xbbc4, v93
	v_fma_f16 v90, v93, 0x388b, -v94
	v_add_f16_e32 v95, v9, v11
	v_mul_f16_e32 v96, 0xba95, v89
	v_fmac_f16_e32 v94, 0x388b, v93
	v_add_f16_e32 v46, v92, v46
	v_add_f16_e32 v85, v90, v85
	v_mul_f16_e32 v90, 0x33a8, v89
	v_fma_f16 v92, v95, 0x388b, -v96
	v_pk_mul_f16 v44, 0xb770ba95, v44 op_sel_hi:[1,0]
	v_add_f16_e32 v87, v94, v87
	v_pk_mul_f16 v50, 0xba95bb7b, v50 op_sel_hi:[1,0]
	v_fma_f16 v94, v95, 0xbbc4, -v90
	v_add_f16_e32 v43, v92, v43
	v_fmac_f16_e32 v90, 0xbbc4, v95
	v_pk_fma_f16 v92, 0x3b15388b, v49, v44 op_sel_hi:[1,0,1] neg_lo:[0,0,1] neg_hi:[0,0,1]
	v_pk_fma_f16 v44, 0x3b15388b, v49, v44 op_sel_hi:[1,0,1]
	v_pk_mul_f16 v88, 0xbbf1b3a8, v88 op_sel_hi:[1,0]
	v_add_f16_e32 v45, v94, v45
	v_add_f16_e32 v48, v90, v48
	v_add_f16_sdwa v49, v27, v92 dst_sel:DWORD dst_unused:UNUSED_PAD src0_sel:DWORD src1_sel:WORD_1
	v_add_f16_e32 v90, v27, v92
	v_pk_fma_f16 v92, 0x388bb5ac, v47, v50 op_sel_hi:[1,0,1] neg_lo:[0,0,1] neg_hi:[0,0,1]
	v_pk_fma_f16 v47, 0x388bb5ac, v47, v50 op_sel_hi:[1,0,1]
	v_mul_f16_e32 v50, 0x3770, v89
	v_pk_add_f16 v44, v27, v44 op_sel_hi:[0,1]
	v_pk_fma_f16 v94, 0x2fb7bbc4, v91, v88 op_sel_hi:[1,0,1] neg_lo:[0,0,1] neg_hi:[0,0,1]
	v_add_f16_e32 v90, v92, v90
	v_pk_mul_f16 v86, 0xbb7b394e, v86 op_sel_hi:[1,0]
	v_add_f16_sdwa v49, v92, v49 dst_sel:DWORD dst_unused:UNUSED_PAD src0_sel:WORD_1 src1_sel:DWORD
	v_fma_f16 v92, v95, 0x3b15, -v50
	v_pk_add_f16 v44, v47, v44
	v_pk_fma_f16 v47, 0x2fb7bbc4, v91, v88 op_sel_hi:[1,0,1]
	v_fmac_f16_e32 v50, 0x3b15, v95
	v_add_f16_e32 v88, v94, v90
	v_pk_fma_f16 v90, 0xb5acb9fd, v93, v86 op_sel_hi:[1,0,1] neg_lo:[0,0,1] neg_hi:[0,0,1]
	v_add_f16_e32 v26, v26, v82
	v_add_f16_sdwa v49, v94, v49 dst_sel:DWORD dst_unused:UNUSED_PAD src0_sel:WORD_1 src1_sel:DWORD
	v_pk_add_f16 v44, v47, v44
	v_pk_fma_f16 v47, 0xb5acb9fd, v93, v86 op_sel_hi:[1,0,1]
	v_add_f16_e32 v46, v50, v46
	v_mul_f16_e32 v50, 0xbb7b, v89
	v_add_f16_e32 v86, v90, v88
	v_pk_mul_f16 v88, 0xb94e3bf1, v89 op_sel_hi:[1,0]
	v_sub_f16_e32 v89, v4, v5
	v_add_f16_e32 v26, v26, v80
	v_add_f16_e32 v52, v92, v52
	v_add_f16_sdwa v49, v90, v49 dst_sel:DWORD dst_unused:UNUSED_PAD src0_sel:WORD_1 src1_sel:DWORD
	v_pk_add_f16 v44, v47, v44
	v_fma_f16 v47, v95, 0xb5ac, -v50
	v_pk_fma_f16 v90, 0xb9fd2fb7, v95, v88 op_sel_hi:[1,0,1] neg_lo:[0,0,1] neg_hi:[0,0,1]
	v_pk_fma_f16 v88, 0xb9fd2fb7, v95, v88 op_sel_hi:[1,0,1]
	v_add_f16_e32 v91, v6, v7
	v_pk_mul_f16 v92, 0xb3a83770, v89 op_sel_hi:[1,0]
	v_add_f16_e32 v26, v26, v74
	v_fmac_f16_e32 v50, 0xb5ac, v95
	v_add_f16_e32 v47, v47, v85
	v_add_f16_sdwa v49, v90, v49 dst_sel:DWORD dst_unused:UNUSED_PAD src0_sel:WORD_1 src1_sel:DWORD
	v_pk_fma_f16 v85, 0xbbc43b15, v91, v92 op_sel_hi:[1,0,1] neg_lo:[0,0,1] neg_hi:[0,0,1]
	v_add_f16_e32 v86, v90, v86
	v_pk_add_f16 v44, v88, v44
	v_mul_f16_e32 v88, 0xb94e, v89
	v_add_f16_e32 v90, v26, v70
	v_add_f16_e32 v27, v27, v56
	v_add_f16_e32 v50, v50, v87
	v_pk_fma_f16 v87, 0xbbc43b15, v91, v92 op_sel_hi:[1,0,1]
	v_add_f16_sdwa v49, v85, v49 dst_sel:DWORD dst_unused:UNUSED_PAD src0_sel:WORD_1 src1_sel:DWORD
	v_add_f16_e32 v92, v85, v86
	v_fma_f16 v85, v91, 0xb9fd, -v88
	v_add_f16_e32 v86, v90, v66
	v_add_f16_e32 v27, v27, v53
	v_fmac_f16_e32 v96, 0x388b, v95
	v_pk_add_f16 v26, v87, v44
	v_add_f16_e32 v43, v85, v43
	v_add_f16_e32 v85, v86, v60
	;; [unrolled: 1-line block ×4, first 2 shown]
	v_mul_f16_e32 v44, 0x3a95, v89
	v_fmac_f16_e32 v88, 0xb9fd, v91
	v_add_f16_e32 v85, v85, v61
	v_add_f16_e32 v27, v27, v13
	v_mul_f16_e32 v86, 0xbb7b, v89
	v_fma_f16 v87, v91, 0x388b, -v44
	v_add_f16_e32 v51, v88, v51
	v_add_f16_e32 v85, v85, v68
	v_add_f16_e32 v27, v27, v9
	v_fmac_f16_e32 v44, 0x388b, v91
	v_fma_f16 v88, v91, 0xb5ac, -v86
	v_add_f16_e32 v45, v87, v45
	v_add_f16_e32 v85, v85, v72
	;; [unrolled: 1-line block ×5, first 2 shown]
	v_mul_f16_e32 v87, 0x3bf1, v89
	v_add_f16_e32 v52, v85, v76
	v_add_f16_e32 v27, v27, v7
	v_cndmask_b32_e64 v85, 0, 0x2a4, s1
	v_fmac_f16_e32 v86, 0xb5ac, v91
	v_fma_f16 v89, v91, 0x2fb7, -v87
	v_add_f16_e32 v52, v52, v83
	v_add_f16_e32 v27, v27, v11
	v_fmac_f16_e32 v87, 0x2fb7, v91
	v_add3_u32 v85, 0, v85, v28
	v_add_f16_e32 v46, v86, v46
	v_add_f16_e32 v28, v52, v84
	v_add_f16_e32 v27, v27, v17
	v_add_f16_e32 v50, v87, v50
	ds_read_u16 v87, v2
	s_waitcnt lgkmcnt(0)
	s_barrier
	buffer_gl0_inv
	ds_write_b16 v85, v28
	ds_write_b16 v85, v33 offset:52
	v_mov_b32_e32 v28, 0x2a4
	v_mov_b32_e32 v33, 1
	v_add_f16_e32 v27, v27, v54
	v_add_f16_e32 v47, v89, v47
	ds_write_b16 v85, v37 offset:104
	ds_write_b16 v85, v35 offset:156
	v_mul_u32_u24_sdwa v28, v29, v28 dst_sel:DWORD dst_unused:UNUSED_PAD src0_sel:WORD_0 src1_sel:DWORD
	v_lshlrev_b32_sdwa v29, v33, v30 dst_sel:DWORD dst_unused:UNUSED_PAD src0_sel:DWORD src1_sel:BYTE_0
	v_add_f16_e32 v27, v27, v59
	ds_write_b16 v85, v39 offset:208
	ds_write_b16 v85, v41 offset:260
	;; [unrolled: 1-line block ×5, first 2 shown]
	v_add3_u32 v86, 0, v28, v29
	v_add_f16_e32 v27, v27, v64
	ds_write_b16 v85, v38 offset:468
	ds_write_b16 v85, v36 offset:520
	;; [unrolled: 1-line block ×4, first 2 shown]
	ds_write_b16 v86, v27
	ds_write_b16 v86, v49 offset:52
	ds_write_b16 v86, v92 offset:104
	;; [unrolled: 1-line block ×11, first 2 shown]
	ds_write_b16_d16_hi v86, v26 offset:624
	s_waitcnt lgkmcnt(0)
	s_barrier
	buffer_gl0_inv
	ds_read_u16 v35, v2 offset:1560
	ds_read_u16 v41, v2 offset:1664
	ds_read_u16 v42, v2
	ds_read_u16 v29, v2 offset:104
	ds_read_u16 v30, v2 offset:208
	ds_read_u16 v32, v2 offset:312
	ds_read_u16 v37, v2 offset:416
	ds_read_u16 v36, v2 offset:884
	ds_read_u16 v40, v2 offset:988
	ds_read_u16 v43, v2 offset:1092
	ds_read_u16 v46, v2 offset:1768
	ds_read_u16 v31, v2 offset:780
	ds_read_u16 v49, v2 offset:676
	ds_read_u16 v45, v2 offset:520
	ds_read_u16 v33, v2 offset:1456
	ds_read_u16 v50, v2 offset:1352
	ds_read_u16 v47, v2 offset:1196
	ds_read_u16 v38, v2 offset:2236
	ds_read_u16 v39, v2 offset:2340
	ds_read_u16 v44, v2 offset:2444
	ds_read_u16 v48, v2 offset:2548
	ds_read_u16 v34, v2 offset:2132
	ds_read_u16 v52, v2 offset:2028
	ds_read_u16 v51, v2 offset:1872
                                        ; implicit-def: $vgpr27
                                        ; implicit-def: $vgpr28
	s_and_saveexec_b32 s1, s0
	s_cbranch_execz .LBB0_15
; %bb.14:
	ds_read_u16 v26, v2 offset:624
	ds_read_u16 v27, v2 offset:1976
	s_waitcnt lgkmcnt(1)
	ds_read_u16_d16_hi v26, v2 offset:1300
	ds_read_u16 v28, v2 offset:2652
.LBB0_15:
	s_or_b32 exec_lo, exec_lo, s1
	v_add_f16_e32 v88, v87, v81
	v_sub_f16_e32 v82, v82, v84
	v_add_f16_e32 v84, v79, v78
	v_add_f16_e32 v81, v81, v77
	v_sub_f16_e32 v80, v80, v83
	v_add_f16_e32 v79, v88, v79
	v_mul_f16_e32 v83, 0xb770, v82
	v_mul_f16_e32 v88, 0xba95, v82
	;; [unrolled: 1-line block ×4, first 2 shown]
	v_add_f16_e32 v79, v79, v73
	v_mul_f16_e32 v91, 0xb94e, v82
	v_mul_f16_e32 v82, 0xb3a8, v82
	;; [unrolled: 1-line block ×4, first 2 shown]
	v_add_f16_e32 v79, v79, v69
	v_fmamk_f16 v95, v81, 0x3b15, v83
	v_fma_f16 v83, v81, 0x3b15, -v83
	v_fmamk_f16 v96, v81, 0x388b, v88
	v_fma_f16 v88, v81, 0x388b, -v88
	v_add_f16_e32 v79, v79, v65
	v_mul_f16_e32 v94, 0xb3a8, v80
	v_fmamk_f16 v97, v81, 0x2fb7, v89
	v_fma_f16 v89, v81, 0x2fb7, -v89
	v_fmamk_f16 v98, v81, 0xb5ac, v90
	v_add_f16_e32 v79, v79, v57
	v_fma_f16 v90, v81, 0xb5ac, -v90
	v_fmamk_f16 v99, v81, 0xb9fd, v91
	v_fma_f16 v91, v81, 0xb9fd, -v91
	v_fmamk_f16 v100, v81, 0xbbc4, v82
	v_add_f16_e32 v79, v79, v58
	v_fma_f16 v81, v81, 0xbbc4, -v82
	v_fmamk_f16 v82, v84, 0x388b, v92
	v_fma_f16 v92, v84, 0x388b, -v92
	v_fmamk_f16 v101, v84, 0xb5ac, v93
	v_add_f16_e32 v79, v79, v67
	v_fma_f16 v93, v84, 0xb5ac, -v93
	v_add_f16_e32 v95, v87, v95
	v_add_f16_e32 v83, v87, v83
	;; [unrolled: 1-line block ×19, first 2 shown]
	v_mul_f16_e32 v78, 0x394e, v80
	v_fmamk_f16 v88, v84, 0xbbc4, v94
	v_fma_f16 v92, v84, 0xbbc4, -v94
	v_mul_f16_e32 v93, 0x3bf1, v80
	v_sub_f16_e32 v74, v74, v76
	v_fmamk_f16 v94, v84, 0xb9fd, v78
	v_fma_f16 v78, v84, 0xb9fd, -v78
	v_add_f16_e32 v89, v92, v89
	v_fmamk_f16 v92, v84, 0x2fb7, v93
	v_mul_f16_e32 v76, 0x3770, v80
	v_add_f16_e32 v73, v73, v75
	v_add_f16_e32 v78, v78, v90
	v_fma_f16 v90, v84, 0x2fb7, -v93
	v_mul_f16_e32 v75, 0xbbf1, v74
	v_add_f16_e32 v80, v92, v99
	v_fmamk_f16 v92, v84, 0x3b15, v76
	v_fma_f16 v76, v84, 0x3b15, -v76
	v_add_f16_e32 v84, v90, v91
	v_mul_f16_e32 v90, 0xb3a8, v74
	v_fmamk_f16 v91, v73, 0x2fb7, v75
	v_add_f16_e32 v83, v101, v96
	v_add_f16_e32 v76, v76, v79
	;; [unrolled: 1-line block ×3, first 2 shown]
	v_fmamk_f16 v79, v73, 0xbbc4, v90
	v_add_f16_e32 v81, v91, v81
	v_fma_f16 v90, v73, 0xbbc4, -v90
	v_mul_f16_e32 v91, 0x3b7b, v74
	v_fma_f16 v75, v73, 0x2fb7, -v75
	v_add_f16_e32 v79, v79, v83
	v_sub_f16_e32 v70, v70, v72
	v_add_f16_e32 v83, v90, v87
	v_fmamk_f16 v87, v73, 0xb5ac, v91
	v_fma_f16 v90, v73, 0xb5ac, -v91
	v_mul_f16_e32 v91, 0xba95, v74
	v_add_f16_e32 v75, v75, v82
	v_mul_f16_e32 v82, 0x3770, v74
	v_add_f16_e32 v87, v87, v88
	v_add_f16_e32 v88, v90, v89
	v_fmamk_f16 v89, v73, 0x388b, v91
	v_mul_f16_e32 v72, 0xb94e, v74
	v_fmamk_f16 v93, v73, 0x3b15, v82
	v_fma_f16 v82, v73, 0x3b15, -v82
	v_add_f16_e32 v69, v69, v71
	v_add_f16_e32 v74, v89, v80
	v_fma_f16 v80, v73, 0x388b, -v91
	v_mul_f16_e32 v71, 0xbb7b, v70
	v_add_f16_e32 v78, v82, v78
	v_fmamk_f16 v82, v73, 0xb9fd, v72
	v_fma_f16 v72, v73, 0xb9fd, -v72
	v_add_f16_e32 v73, v80, v84
	v_mul_f16_e32 v80, 0x394e, v70
	v_fmamk_f16 v84, v69, 0xb5ac, v71
	v_fma_f16 v71, v69, 0xb5ac, -v71
	v_add_f16_e32 v72, v72, v76
	v_sub_f16_e32 v66, v66, v68
	v_fmamk_f16 v76, v69, 0xb9fd, v80
	v_add_f16_e32 v81, v84, v81
	v_fma_f16 v80, v69, 0xb9fd, -v80
	v_mul_f16_e32 v84, 0x3770, v70
	v_add_f16_e32 v71, v71, v75
	v_add_f16_e32 v75, v76, v79
	v_mul_f16_e32 v76, 0xbbf1, v70
	v_add_f16_e32 v79, v80, v83
	v_fmamk_f16 v80, v69, 0x3b15, v84
	v_fma_f16 v83, v69, 0x3b15, -v84
	v_mul_f16_e32 v84, 0x33a8, v70
	v_fmamk_f16 v89, v69, 0x2fb7, v76
	v_fma_f16 v76, v69, 0x2fb7, -v76
	v_add_f16_e32 v80, v80, v87
	v_mul_f16_e32 v68, 0x3a95, v70
	v_fmamk_f16 v87, v69, 0xbbc4, v84
	v_add_f16_e32 v65, v65, v67
	v_add_f16_e32 v76, v76, v78
	v_mul_f16_e32 v67, 0xb94e, v66
	v_fmamk_f16 v78, v69, 0x388b, v68
	v_add_f16_e32 v70, v87, v74
	v_fma_f16 v74, v69, 0xbbc4, -v84
	v_fma_f16 v68, v69, 0x388b, -v68
	v_add_f16_e32 v92, v92, v100
	v_sub_f16_e32 v60, v60, v61
	v_add_f16_e32 v57, v57, v58
	v_add_f16_e32 v69, v74, v73
	v_mul_f16_e32 v73, 0x3bf1, v66
	v_fmamk_f16 v74, v65, 0xb9fd, v67
	v_add_f16_e32 v68, v68, v72
	v_fma_f16 v67, v65, 0xb9fd, -v67
	v_add_f16_e32 v82, v82, v92
	v_fmamk_f16 v72, v65, 0x2fb7, v73
	v_add_f16_e32 v74, v74, v81
	v_fma_f16 v73, v65, 0x2fb7, -v73
	v_add_f16_e32 v67, v67, v71
	v_add_f16_e32 v78, v78, v82
	;; [unrolled: 1-line block ×3, first 2 shown]
	v_mul_f16_e32 v72, 0x33a8, v66
	v_mul_f16_e32 v81, 0xba95, v66
	v_add_f16_e32 v73, v73, v79
	v_mul_f16_e32 v58, 0xb3a8, v60
	v_add_f16_e32 v94, v94, v98
	v_fmamk_f16 v82, v65, 0xbbc4, v72
	v_fma_f16 v72, v65, 0xbbc4, -v72
	v_fmamk_f16 v75, v65, 0x388b, v81
	v_fma_f16 v79, v65, 0x388b, -v81
	v_mul_f16_e32 v81, 0x3770, v66
	v_mul_f16_e32 v66, 0xbb7b, v66
	v_add_f16_e32 v72, v72, v76
	v_add_f16_e32 v76, v3, v55
	;; [unrolled: 1-line block ×3, first 2 shown]
	v_fmamk_f16 v80, v65, 0x3b15, v81
	v_fma_f16 v61, v65, 0x3b15, -v81
	v_add_f16_e32 v83, v83, v88
	v_add_f16_e32 v76, v76, v22
	;; [unrolled: 1-line block ×4, first 2 shown]
	v_fmamk_f16 v80, v65, 0xb5ac, v66
	v_fma_f16 v65, v65, 0xb5ac, -v66
	v_add_f16_e32 v66, v76, v15
	v_add_f16_e32 v61, v61, v69
	v_fmamk_f16 v76, v57, 0xbbc4, v58
	v_add_f16_e32 v69, v80, v78
	v_mul_f16_e32 v78, 0x3770, v60
	v_add_f16_e32 v66, v66, v12
	v_fma_f16 v58, v57, 0xbbc4, -v58
	v_add_f16_e32 v65, v65, v68
	v_add_f16_e32 v68, v76, v74
	v_fmamk_f16 v74, v57, 0x3b15, v78
	v_add_f16_e32 v66, v66, v8
	v_mul_f16_e32 v76, 0xb94e, v60
	v_add_f16_e32 v58, v58, v67
	v_fma_f16 v67, v57, 0x3b15, -v78
	v_add_f16_e32 v79, v79, v83
	v_add_f16_e32 v66, v66, v4
	;; [unrolled: 1-line block ×3, first 2 shown]
	v_fmamk_f16 v74, v57, 0xb9fd, v76
	v_mul_f16_e32 v78, 0x3a95, v60
	v_add_f16_e32 v67, v67, v73
	v_add_f16_e32 v66, v66, v5
	v_fma_f16 v73, v57, 0xb9fd, -v76
	v_mul_f16_e32 v76, 0xbb7b, v60
	v_mul_f16_e32 v60, 0x3bf1, v60
	v_sub_f16_e32 v56, v56, v64
	v_add_f16_e32 v66, v66, v10
	v_add_f16_e32 v88, v89, v90
	;; [unrolled: 1-line block ×3, first 2 shown]
	v_fmamk_f16 v75, v57, 0x388b, v78
	v_add_f16_e32 v73, v73, v79
	v_add_f16_e32 v66, v66, v14
	v_fma_f16 v78, v57, 0x388b, -v78
	v_fmamk_f16 v79, v57, 0xb5ac, v76
	v_fma_f16 v76, v57, 0xb5ac, -v76
	v_add_f16_e32 v55, v55, v63
	v_add_f16_e32 v64, v66, v23
	v_fmamk_f16 v66, v57, 0x2fb7, v60
	v_fma_f16 v57, v57, 0x2fb7, -v60
	v_mul_f16_e32 v60, 0xbbf1, v56
	v_sub_f16_e32 v53, v53, v59
	v_add_f16_e32 v64, v64, v62
	v_add_f16_e32 v82, v82, v88
	;; [unrolled: 1-line block ×3, first 2 shown]
	v_fmamk_f16 v69, v55, 0x2fb7, v60
	v_fma_f16 v60, v55, 0x2fb7, -v60
	v_add_f16_e32 v63, v64, v63
	v_mul_f16_e32 v64, 0xb94e, v56
	v_add_f16_e32 v22, v22, v62
	v_mul_f16_e32 v62, 0xb3a8, v53
	v_add_f16_e32 v75, v75, v82
	v_add_f16_e32 v72, v78, v72
	;; [unrolled: 1-line block ×3, first 2 shown]
	v_fmamk_f16 v78, v55, 0xb9fd, v64
	v_fmamk_f16 v81, v22, 0xbbc4, v62
	v_fma_f16 v62, v22, 0xbbc4, -v62
	v_mul_f16_e32 v82, 0x3bf1, v53
	v_add_f16_e32 v70, v79, v70
	v_add_f16_e32 v57, v57, v65
	v_mul_f16_e32 v65, 0xbb7b, v56
	v_add_f16_e32 v69, v3, v69
	v_mul_f16_e32 v79, 0xb3a8, v56
	v_add_f16_e32 v59, v3, v78
	v_fma_f16 v64, v55, 0xb9fd, -v64
	v_add_f16_e32 v60, v62, v60
	v_fmamk_f16 v62, v22, 0x2fb7, v82
	v_add_f16_e32 v61, v76, v61
	v_fmamk_f16 v76, v55, 0xb5ac, v65
	v_fma_f16 v65, v55, 0xb5ac, -v65
	v_fmamk_f16 v78, v55, 0xbbc4, v79
	v_add_f16_e32 v64, v3, v64
	v_mul_f16_e32 v80, 0x394e, v53
	v_add_f16_e32 v69, v81, v69
	v_mul_f16_e32 v81, 0x3770, v53
	v_sub_f16_e32 v16, v16, v54
	v_add_f16_e32 v54, v62, v59
	v_fma_f16 v59, v22, 0x2fb7, -v82
	v_add_f16_e32 v76, v3, v76
	v_add_f16_e32 v65, v3, v65
	v_fma_f16 v79, v55, 0xbbc4, -v79
	v_add_f16_e32 v78, v3, v78
	v_fmamk_f16 v83, v22, 0xb9fd, v80
	v_fma_f16 v80, v22, 0xb9fd, -v80
	v_fmamk_f16 v62, v22, 0x3b15, v81
	v_add_f16_e32 v15, v15, v23
	v_mul_f16_e32 v23, 0x3b7b, v16
	v_add_f16_e32 v59, v59, v64
	v_mul_f16_e32 v64, 0x3770, v16
	v_add_f16_e32 v79, v3, v79
	v_add_f16_e32 v76, v83, v76
	;; [unrolled: 1-line block ×3, first 2 shown]
	v_fma_f16 v80, v22, 0x3b15, -v81
	v_add_f16_e32 v62, v62, v78
	v_fmamk_f16 v78, v15, 0xb5ac, v23
	v_fma_f16 v23, v15, 0xb5ac, -v23
	v_fmamk_f16 v81, v15, 0x3b15, v64
	v_add_f16_e32 v79, v80, v79
	v_mul_f16_e32 v80, 0xba95, v16
	v_fma_f16 v64, v15, 0x3b15, -v64
	v_add_f16_e32 v23, v23, v60
	v_add_f16_e32 v60, v81, v76
	v_mul_f16_e32 v76, 0xb94e, v16
	v_sub_f16_e32 v13, v13, v17
	v_add_f16_e32 v69, v78, v69
	v_fmamk_f16 v78, v15, 0x388b, v80
	v_add_f16_e32 v64, v64, v65
	v_fma_f16 v17, v15, 0x388b, -v80
	v_fmamk_f16 v65, v15, 0xb9fd, v76
	v_fma_f16 v76, v15, 0xb9fd, -v76
	v_add_f16_e32 v12, v12, v14
	v_mul_f16_e32 v14, 0x3770, v13
	v_add_f16_e32 v54, v78, v54
	v_add_f16_e32 v17, v17, v59
	;; [unrolled: 1-line block ×4, first 2 shown]
	v_fmamk_f16 v76, v12, 0x3b15, v14
	v_fma_f16 v14, v12, 0x3b15, -v14
	v_mul_f16_e32 v78, 0x33a8, v13
	v_mul_f16_e32 v62, 0xbbf1, v13
	v_sub_f16_e32 v9, v9, v11
	v_mul_f16_e32 v11, 0x3a95, v13
	v_add_f16_e32 v14, v14, v23
	v_fmamk_f16 v23, v12, 0xbbc4, v78
	v_fmamk_f16 v79, v12, 0x2fb7, v62
	v_fma_f16 v62, v12, 0x2fb7, -v62
	v_add_f16_e32 v8, v8, v10
	v_mul_f16_e32 v10, 0xba95, v9
	v_add_f16_e32 v23, v23, v54
	v_fma_f16 v54, v12, 0xbbc4, -v78
	v_add_f16_e32 v69, v76, v69
	v_add_f16_e32 v62, v62, v64
	v_fmamk_f16 v64, v12, 0x388b, v11
	v_fma_f16 v11, v12, 0x388b, -v11
	v_add_f16_e32 v17, v54, v17
	v_mul_f16_e32 v54, 0x33a8, v9
	v_fmamk_f16 v76, v8, 0x388b, v10
	v_add_f16_e32 v60, v79, v60
	v_add_f16_e32 v59, v64, v59
	;; [unrolled: 1-line block ×3, first 2 shown]
	v_fma_f16 v10, v8, 0x388b, -v10
	v_fmamk_f16 v64, v8, 0xbbc4, v54
	v_add_f16_e32 v65, v76, v69
	v_mul_f16_e32 v69, 0x3770, v9
	v_fma_f16 v54, v8, 0xbbc4, -v54
	v_add_f16_e32 v10, v10, v14
	v_add_f16_e32 v14, v64, v60
	v_pk_mul_f16 v56, 0xb770ba95, v56 op_sel_hi:[1,0]
	v_fmamk_f16 v60, v8, 0x3b15, v69
	v_add_f16_e32 v54, v54, v62
	v_mul_f16_e32 v62, 0xbb7b, v9
	v_fma_f16 v64, v8, 0x3b15, -v69
	v_pk_fma_f16 v69, 0x3b15388b, v55, v56 op_sel_hi:[1,0,1]
	v_add_f16_e32 v23, v60, v23
	v_pk_mul_f16 v53, 0xba95bb7b, v53 op_sel_hi:[1,0]
	v_fmamk_f16 v60, v8, 0xb5ac, v62
	v_add_f16_e32 v17, v64, v17
	v_add_f16_sdwa v64, v3, v69 dst_sel:DWORD dst_unused:UNUSED_PAD src0_sel:DWORD src1_sel:WORD_1
	v_pk_fma_f16 v55, 0x3b15388b, v55, v56 op_sel_hi:[1,0,1] neg_lo:[0,0,1] neg_hi:[0,0,1]
	v_pk_fma_f16 v56, 0x388bb5ac, v22, v53 op_sel_hi:[1,0,1]
	v_add_f16_e32 v59, v60, v59
	v_pk_mul_f16 v16, 0xbbf1b3a8, v16 op_sel_hi:[1,0]
	v_add_f16_e32 v60, v3, v69
	v_pk_add_f16 v3, v3, v55 op_sel_hi:[0,1]
	v_add_f16_sdwa v55, v56, v64 dst_sel:DWORD dst_unused:UNUSED_PAD src0_sel:WORD_1 src1_sel:DWORD
	v_pk_fma_f16 v22, 0x388bb5ac, v22, v53 op_sel_hi:[1,0,1] neg_lo:[0,0,1] neg_hi:[0,0,1]
	v_pk_fma_f16 v53, 0x2fb7bbc4, v15, v16 op_sel_hi:[1,0,1]
	v_pk_mul_f16 v13, 0xbb7b394e, v13 op_sel_hi:[1,0]
	v_add_f16_e32 v56, v56, v60
	v_pk_fma_f16 v15, 0x2fb7bbc4, v15, v16 op_sel_hi:[1,0,1] neg_lo:[0,0,1] neg_hi:[0,0,1]
	v_pk_add_f16 v3, v22, v3
	v_add_f16_sdwa v22, v53, v55 dst_sel:DWORD dst_unused:UNUSED_PAD src0_sel:WORD_1 src1_sel:DWORD
	v_pk_fma_f16 v16, 0xb5acb9fd, v12, v13 op_sel_hi:[1,0,1]
	v_sub_f16_e32 v6, v6, v7
	v_pk_mul_f16 v7, 0xb94e3bf1, v9 op_sel_hi:[1,0]
	v_add_f16_e32 v9, v53, v56
	v_pk_add_f16 v3, v15, v3
	v_add_f16_sdwa v15, v16, v22 dst_sel:DWORD dst_unused:UNUSED_PAD src0_sel:WORD_1 src1_sel:DWORD
	v_pk_fma_f16 v12, 0xb5acb9fd, v12, v13 op_sel_hi:[1,0,1] neg_lo:[0,0,1] neg_hi:[0,0,1]
	v_pk_fma_f16 v13, 0xb9fd2fb7, v8, v7 op_sel_hi:[1,0,1]
	v_add_f16_e32 v4, v4, v5
	v_pk_mul_f16 v5, 0xb3a83770, v6 op_sel_hi:[1,0]
	v_add_f16_e32 v9, v16, v9
	v_fma_f16 v62, v8, 0xb5ac, -v62
	v_pk_add_f16 v3, v12, v3
	v_add_f16_sdwa v12, v13, v15 dst_sel:DWORD dst_unused:UNUSED_PAD src0_sel:WORD_1 src1_sel:DWORD
	v_pk_fma_f16 v7, 0xb9fd2fb7, v8, v7 op_sel_hi:[1,0,1] neg_lo:[0,0,1] neg_hi:[0,0,1]
	v_pk_fma_f16 v8, 0xbbc43b15, v4, v5 op_sel_hi:[1,0,1]
	v_add_f16_e32 v9, v13, v9
	v_mul_f16_e32 v13, 0xb94e, v6
	v_pk_fma_f16 v5, 0xbbc43b15, v4, v5 op_sel_hi:[1,0,1] neg_lo:[0,0,1] neg_hi:[0,0,1]
	v_pk_add_f16 v3, v7, v3
	v_add_f16_sdwa v7, v8, v12 dst_sel:DWORD dst_unused:UNUSED_PAD src0_sel:WORD_1 src1_sel:DWORD
	v_mul_f16_e32 v12, 0x3a95, v6
	v_fmamk_f16 v15, v4, 0xb9fd, v13
	v_add_f16_e32 v8, v8, v9
	v_fma_f16 v9, v4, 0xb9fd, -v13
	v_mul_f16_e32 v13, 0xbb7b, v6
	v_pk_add_f16 v53, v5, v3
	v_fmamk_f16 v3, v4, 0x388b, v12
	v_mul_f16_e32 v6, 0x3bf1, v6
	v_add_f16_e32 v9, v9, v10
	v_fma_f16 v10, v4, 0x388b, -v12
	v_fmamk_f16 v12, v4, 0xb5ac, v13
	v_fma_f16 v13, v4, 0xb5ac, -v13
	v_add_f16_e32 v11, v62, v11
	v_add_f16_e32 v3, v3, v14
	v_fmamk_f16 v14, v4, 0x2fb7, v6
	v_fma_f16 v4, v4, 0x2fb7, -v6
	v_add_f16_e32 v6, v10, v54
	v_add_f16_e32 v10, v12, v23
	;; [unrolled: 1-line block ×3, first 2 shown]
	v_lshrrev_b32_e32 v54, 16, v53
	v_add_f16_e32 v5, v15, v65
	v_add_f16_e32 v13, v14, v59
	;; [unrolled: 1-line block ×3, first 2 shown]
	s_waitcnt lgkmcnt(0)
	s_barrier
	buffer_gl0_inv
	ds_write_b16 v85, v77
	ds_write_b16 v85, v68 offset:52
	ds_write_b16 v85, v71 offset:104
	;; [unrolled: 1-line block ×12, first 2 shown]
	ds_write_b16 v86, v63
	ds_write_b16 v86, v7 offset:52
	ds_write_b16 v86, v8 offset:104
	;; [unrolled: 1-line block ×12, first 2 shown]
	s_waitcnt lgkmcnt(0)
	s_barrier
	buffer_gl0_inv
	ds_read_u16 v60, v2 offset:780
	ds_read_u16 v59, v2 offset:1456
	;; [unrolled: 1-line block ×4, first 2 shown]
	ds_read_u16 v68, v2
	ds_read_u16 v57, v2 offset:104
	ds_read_u16 v58, v2 offset:208
	ds_read_u16 v61, v2 offset:312
	ds_read_u16 v65, v2 offset:416
	ds_read_u16 v64, v2 offset:884
	ds_read_u16 v69, v2 offset:988
	ds_read_u16 v73, v2 offset:1092
	ds_read_u16 v72, v2 offset:1768
	ds_read_u16 v76, v2 offset:676
	ds_read_u16 v71, v2 offset:520
	ds_read_u16 v77, v2 offset:1352
	ds_read_u16 v75, v2 offset:1196
	ds_read_u16 v62, v2 offset:2132
	ds_read_u16 v66, v2 offset:2236
	ds_read_u16 v70, v2 offset:2340
	ds_read_u16 v74, v2 offset:2444
	ds_read_u16 v78, v2 offset:2548
	ds_read_u16 v80, v2 offset:2028
	ds_read_u16 v79, v2 offset:1872
                                        ; implicit-def: $vgpr55
                                        ; implicit-def: $vgpr56
	s_and_saveexec_b32 s1, s0
	s_cbranch_execz .LBB0_17
; %bb.16:
	ds_read_u16 v53, v2 offset:624
	ds_read_u16 v54, v2 offset:1300
	;; [unrolled: 1-line block ×4, first 2 shown]
	v_mov_b32_e32 v25, v1
.LBB0_17:
	s_or_b32 exec_lo, exec_lo, s1
	s_and_saveexec_b32 s0, vcc_lo
	s_cbranch_execz .LBB0_20
; %bb.18:
	v_mul_u32_u24_e32 v1, 3, v24
	v_mul_u32_u24_e32 v2, 3, v0
	v_mad_u32_u24 v22, v0, 3, 0xffffff64
	v_mov_b32_e32 v23, 0
	v_add_nc_u32_e32 v83, 52, v24
	v_lshlrev_b32_e32 v1, 2, v1
	v_mul_lo_u32 v81, s2, v21
	v_mul_hi_u32 v82, 0x60f25deb, v24
	v_add_nc_u32_e32 v84, 0x68, v24
	v_mul_hi_u32 v92, 0x60f25deb, v83
	global_load_dwordx3 v[15:17], v1, s[8:9] offset:1344
	v_lshlrev_b32_e32 v1, 2, v2
	v_add_nc_u32_e32 v86, 0x9c, v24
	v_mul_hi_u32 v95, 0x60f25deb, v84
	v_add_nc_u32_e32 v89, 0xd0, v24
	v_lshrrev_b32_e32 v82, 7, v82
	global_load_dwordx3 v[12:14], v1, s[8:9] offset:1344
	v_lshlrev_b64 v[1:2], 2, v[22:23]
	v_mad_u32_u24 v22, v0, 3, 0xfffffec8
	v_mul_hi_u32 v97, 0x60f25deb, v86
	v_lshlrev_b64 v[18:19], 2, v[18:19]
	v_add_nc_u32_e32 v113, 0x104, v24
	v_mul_hi_u32 v98, 0x60f25deb, v89
	v_add_co_u32 v1, vcc_lo, s8, v1
	v_add_co_ci_u32_e32 v2, vcc_lo, s9, v2, vcc_lo
	v_mul_hi_u32 v99, 0x60f25deb, v113
	v_mov_b32_e32 v85, v23
	v_mov_b32_e32 v87, v23
	global_load_dwordx3 v[9:11], v[1:2], off offset:1344
	v_lshlrev_b64 v[1:2], 2, v[22:23]
	v_mad_u32_u24 v22, v0, 3, 0xfffffe2c
	v_lshrrev_b32_e32 v111, 7, v98
	v_mov_b32_e32 v88, v23
	v_lshrrev_b32_e32 v114, 7, v99
	v_mov_b32_e32 v90, v23
	v_add_co_u32 v1, vcc_lo, s8, v1
	v_add_co_ci_u32_e32 v2, vcc_lo, s9, v2, vcc_lo
	v_mul_u32_u24_e32 v99, 0x152, v111
	v_mov_b32_e32 v91, v23
	v_mov_b32_e32 v93, v23
	global_load_dwordx3 v[6:8], v[1:2], off offset:1344
	v_lshlrev_b64 v[1:2], 2, v[22:23]
	v_mad_u32_u24 v22, v0, 3, 0xfffffd90
	v_sub_nc_u32_e32 v112, v89, v99
	v_mov_b32_e32 v94, v23
	v_mov_b32_e32 v96, v23
	v_mul_u32_u24_e32 v115, 0x152, v114
	v_add_co_u32 v1, vcc_lo, s8, v1
	v_add_co_ci_u32_e32 v2, vcc_lo, s9, v2, vcc_lo
	global_load_dwordx3 v[3:5], v[1:2], off offset:1344
	v_lshlrev_b64 v[0:1], 2, v[22:23]
	v_mul_lo_u32 v22, s3, v20
	v_mad_u64_u32 v[20:21], null, s2, v20, 0
	v_add_co_u32 v0, vcc_lo, s8, v0
	v_add_co_ci_u32_e32 v1, vcc_lo, s9, v1, vcc_lo
	v_add3_u32 v21, v21, v81, v22
	v_lshrrev_b32_e32 v22, 7, v92
	v_mul_u32_u24_e32 v81, 0x152, v82
	global_load_dwordx3 v[0:2], v[0:1], off offset:1344
	v_lshrrev_b32_e32 v92, 7, v95
	v_lshlrev_b64 v[20:21], 2, v[20:21]
	v_mul_u32_u24_e32 v82, 0x152, v22
	v_sub_nc_u32_e32 v81, v24, v81
	v_lshrrev_b32_e32 v95, 7, v97
	v_mul_u32_u24_e32 v97, 0x152, v92
	v_add_co_u32 v20, vcc_lo, s14, v20
	v_sub_nc_u32_e32 v82, v83, v82
	v_add_co_ci_u32_e32 v21, vcc_lo, s15, v21, vcc_lo
	v_lshlrev_b32_e32 v81, 2, v81
	v_add_co_u32 v18, vcc_lo, v20, v18
	v_mad_u32_u24 v22, 0x548, v22, v82
	v_mul_u32_u24_e32 v98, 0x152, v95
	v_add_co_ci_u32_e32 v19, vcc_lo, v21, v19, vcc_lo
	v_sub_nc_u32_e32 v101, v84, v97
	v_add_co_u32 v20, vcc_lo, v18, v81
	v_add_nc_u32_e32 v84, 0x152, v22
	v_sub_nc_u32_e32 v107, v86, v98
	v_add_co_ci_u32_e32 v21, vcc_lo, 0, v19, vcc_lo
	v_lshlrev_b64 v[81:82], 2, v[22:23]
	v_add_nc_u32_e32 v86, 0x2a4, v22
	v_add_nc_u32_e32 v22, 0x3f6, v22
	v_add_co_u32 v97, vcc_lo, 0x800, v20
	v_lshlrev_b64 v[83:84], 2, v[84:85]
	v_add_co_ci_u32_e32 v98, vcc_lo, 0, v21, vcc_lo
	v_lshlrev_b64 v[99:100], 2, v[22:23]
	v_mad_u32_u24 v22, 0x548, v92, v101
	v_lshlrev_b64 v[85:86], 2, v[86:87]
	v_add_co_u32 v81, vcc_lo, v18, v81
	v_add_co_ci_u32_e32 v82, vcc_lo, v19, v82, vcc_lo
	v_add_co_u32 v83, vcc_lo, v18, v83
	v_add_nc_u32_e32 v87, 0x152, v22
	v_add_co_ci_u32_e32 v84, vcc_lo, v19, v84, vcc_lo
	v_lshlrev_b64 v[101:102], 2, v[22:23]
	v_add_nc_u32_e32 v89, 0x2a4, v22
	v_add_nc_u32_e32 v22, 0x3f6, v22
	v_add_co_u32 v85, vcc_lo, v18, v85
	v_add_co_ci_u32_e32 v86, vcc_lo, v19, v86, vcc_lo
	v_add_co_u32 v99, vcc_lo, v18, v99
	v_lshlrev_b64 v[87:88], 2, v[87:88]
	v_add_co_ci_u32_e32 v100, vcc_lo, v19, v100, vcc_lo
	v_lshlrev_b64 v[105:106], 2, v[22:23]
	v_mad_u32_u24 v22, 0x548, v95, v107
	v_lshlrev_b64 v[103:104], 2, v[89:90]
	v_add_co_u32 v101, vcc_lo, v18, v101
	v_add_co_ci_u32_e32 v102, vcc_lo, v19, v102, vcc_lo
	v_add_co_u32 v87, vcc_lo, v18, v87
	v_add_nc_u32_e32 v90, 0x152, v22
	v_add_co_ci_u32_e32 v88, vcc_lo, v19, v88, vcc_lo
	v_lshlrev_b64 v[107:108], 2, v[22:23]
	v_add_co_u32 v103, vcc_lo, v18, v103
	v_add_nc_u32_e32 v92, 0x2a4, v22
	v_add_nc_u32_e32 v22, 0x3f6, v22
	v_add_co_ci_u32_e32 v104, vcc_lo, v19, v104, vcc_lo
	v_add_co_u32 v105, vcc_lo, v18, v105
	v_lshlrev_b64 v[89:90], 2, v[90:91]
	v_add_co_ci_u32_e32 v106, vcc_lo, v19, v106, vcc_lo
	v_lshlrev_b64 v[91:92], 2, v[92:93]
	v_lshlrev_b64 v[109:110], 2, v[22:23]
	v_mad_u32_u24 v22, 0x548, v111, v112
	v_add_co_u32 v107, vcc_lo, v18, v107
	v_add_co_ci_u32_e32 v108, vcc_lo, v19, v108, vcc_lo
	v_add_co_u32 v89, vcc_lo, v18, v89
	v_add_nc_u32_e32 v93, 0x152, v22
	v_add_co_ci_u32_e32 v90, vcc_lo, v19, v90, vcc_lo
	v_lshlrev_b64 v[111:112], 2, v[22:23]
	v_add_co_u32 v91, vcc_lo, v18, v91
	v_add_nc_u32_e32 v95, 0x2a4, v22
	v_add_co_ci_u32_e32 v92, vcc_lo, v19, v92, vcc_lo
	v_add_co_u32 v109, vcc_lo, v18, v109
	v_lshlrev_b64 v[93:94], 2, v[93:94]
	v_add_nc_u32_e32 v22, 0x3f6, v22
	v_add_co_ci_u32_e32 v110, vcc_lo, v19, v110, vcc_lo
	v_add_co_u32 v111, vcc_lo, v18, v111
	v_lshlrev_b64 v[95:96], 2, v[95:96]
	v_add_co_ci_u32_e32 v112, vcc_lo, v19, v112, vcc_lo
	v_add_co_u32 v93, vcc_lo, v18, v93
	v_add_co_ci_u32_e32 v94, vcc_lo, v19, v94, vcc_lo
	s_waitcnt vmcnt(5) lgkmcnt(8)
	v_mul_f16_sdwa v116, v77, v16 dst_sel:DWORD dst_unused:UNUSED_PAD src0_sel:DWORD src1_sel:WORD_1
	v_mul_f16_sdwa v117, v49, v15 dst_sel:DWORD dst_unused:UNUSED_PAD src0_sel:DWORD src1_sel:WORD_1
	;; [unrolled: 1-line block ×5, first 2 shown]
	s_waitcnt lgkmcnt(1)
	v_mul_f16_sdwa v121, v80, v17 dst_sel:DWORD dst_unused:UNUSED_PAD src0_sel:DWORD src1_sel:WORD_1
	s_waitcnt vmcnt(4)
	v_lshrrev_b32_e32 v122, 16, v12
	s_waitcnt lgkmcnt(0)
	v_mul_f16_sdwa v123, v79, v13 dst_sel:DWORD dst_unused:UNUSED_PAD src0_sel:DWORD src1_sel:WORD_1
	v_lshrrev_b32_e32 v124, 16, v14
	v_mul_f16_sdwa v125, v51, v13 dst_sel:DWORD dst_unused:UNUSED_PAD src0_sel:DWORD src1_sel:WORD_1
	v_mul_f16_e32 v126, v75, v12
	v_mul_f16_e32 v127, v78, v14
	v_fma_f16 v50, v50, v16, -v116
	v_fmac_f16_e32 v117, v76, v15
	v_fmac_f16_e32 v118, v80, v17
	;; [unrolled: 1-line block ×3, first 2 shown]
	v_fma_f16 v15, v49, v15, -v120
	v_fma_f16 v16, v52, v17, -v121
	v_mul_f16_e32 v17, v75, v122
	v_fma_f16 v49, v51, v13, -v123
	v_mul_f16_e32 v51, v78, v124
	v_fmac_f16_e32 v125, v79, v13
	s_waitcnt vmcnt(3)
	v_lshrrev_b32_e32 v13, 16, v9
	v_lshrrev_b32_e32 v52, 16, v11
	v_mul_f16_sdwa v75, v72, v10 dst_sel:DWORD dst_unused:UNUSED_PAD src0_sel:DWORD src1_sel:WORD_1
	v_mul_f16_sdwa v76, v46, v10 dst_sel:DWORD dst_unused:UNUSED_PAD src0_sel:DWORD src1_sel:WORD_1
	v_mul_f16_e32 v77, v73, v9
	v_mul_f16_e32 v78, v74, v11
	;; [unrolled: 1-line block ×3, first 2 shown]
	v_fma_f16 v46, v46, v10, -v75
	v_mul_f16_e32 v74, v74, v52
	v_fmac_f16_e32 v76, v72, v10
	v_fmac_f16_e32 v77, v43, v13
	;; [unrolled: 1-line block ×3, first 2 shown]
	s_waitcnt vmcnt(2)
	v_mul_f16_sdwa v10, v67, v7 dst_sel:DWORD dst_unused:UNUSED_PAD src0_sel:DWORD src1_sel:WORD_1
	v_mul_f16_sdwa v13, v41, v7 dst_sel:DWORD dst_unused:UNUSED_PAD src0_sel:DWORD src1_sel:WORD_1
	v_lshrrev_b32_e32 v52, 16, v8
	v_mul_f16_e32 v72, v70, v8
	v_mul_f16_sdwa v75, v40, v6 dst_sel:DWORD dst_unused:UNUSED_PAD src0_sel:DWORD src1_sel:WORD_1
	v_mul_f16_sdwa v79, v69, v6 dst_sel:DWORD dst_unused:UNUSED_PAD src0_sel:DWORD src1_sel:WORD_1
	v_fma_f16 v12, v47, v12, -v17
	v_fma_f16 v14, v48, v14, -v51
	v_sub_f16_e32 v17, v45, v49
	v_sub_f16_e32 v49, v42, v50
	;; [unrolled: 1-line block ×5, first 2 shown]
	v_fma_f16 v10, v41, v7, -v10
	v_fmac_f16_e32 v13, v67, v7
	v_fmac_f16_e32 v72, v39, v52
	v_mul_f16_e32 v7, v70, v52
	v_fmac_f16_e32 v75, v69, v6
	v_sub_f16_e32 v41, v37, v46
	v_fma_f16 v6, v40, v6, -v79
	s_waitcnt vmcnt(1)
	v_mul_f16_sdwa v40, v63, v4 dst_sel:DWORD dst_unused:UNUSED_PAD src0_sel:DWORD src1_sel:WORD_1
	v_mul_f16_sdwa v46, v36, v3 dst_sel:DWORD dst_unused:UNUSED_PAD src0_sel:DWORD src1_sel:WORD_1
	;; [unrolled: 1-line block ×6, first 2 shown]
	v_fma_f16 v116, v117, 2.0, -v50
	v_sub_f16_e32 v50, v49, v50
	v_fma_f16 v15, v15, 2.0, -v16
	v_add_f16_e32 v16, v51, v16
	v_fma_f16 v42, v42, 2.0, -v49
	v_fma_f16 v68, v68, 2.0, -v51
	v_fma_f16 v9, v43, v9, -v73
	v_fma_f16 v11, v44, v11, -v74
	v_sub_f16_e32 v43, v77, v78
	v_sub_f16_e32 v44, v65, v76
	v_fma_f16 v35, v35, v4, -v40
	v_fmac_f16_e32 v46, v64, v3
	v_fmac_f16_e32 v52, v66, v5
	v_fmac_f16_e32 v67, v63, v4
	v_fma_f16 v3, v36, v3, -v69
	v_fma_f16 v4, v38, v5, -v70
	s_waitcnt vmcnt(0)
	v_mul_f16_sdwa v5, v59, v1 dst_sel:DWORD dst_unused:UNUSED_PAD src0_sel:DWORD src1_sel:WORD_1
	v_mul_f16_sdwa v36, v31, v0 dst_sel:DWORD dst_unused:UNUSED_PAD src0_sel:DWORD src1_sel:WORD_1
	;; [unrolled: 1-line block ×6, first 2 shown]
	v_fma_f16 v49, v49, 2.0, -v50
	v_fma_f16 v51, v51, 2.0, -v16
	v_pack_b32_f16 v16, v50, v16
	v_sub_f16_e32 v15, v42, v15
	v_sub_f16_e32 v73, v68, v116
	v_fma_f16 v7, v39, v8, -v7
	v_fma_f16 v8, v77, 2.0, -v43
	v_sub_f16_e32 v39, v41, v43
	v_sub_f16_e32 v11, v9, v11
	v_fma_f16 v43, v65, 2.0, -v44
	v_sub_f16_e32 v10, v32, v10
	v_sub_f16_e32 v65, v75, v72
	v_fma_f16 v5, v33, v1, -v5
	v_fmac_f16_e32 v36, v60, v0
	v_fmac_f16_e32 v38, v62, v2
	;; [unrolled: 1-line block ×3, first 2 shown]
	v_fma_f16 v0, v31, v0, -v63
	v_fma_f16 v1, v34, v2, -v64
	v_fma_f16 v37, v37, 2.0, -v41
	v_fma_f16 v42, v42, 2.0, -v15
	;; [unrolled: 1-line block ×3, first 2 shown]
	v_pack_b32_f16 v49, v49, v51
	global_store_dword v[97:98], v16, off offset:2008
	v_fma_f16 v16, v41, 2.0, -v39
	v_fma_f16 v9, v9, 2.0, -v11
	v_sub_f16_e32 v8, v43, v8
	v_fma_f16 v41, v75, 2.0, -v65
	v_sub_f16_e32 v51, v10, v65
	v_sub_f16_e32 v52, v46, v52
	;; [unrolled: 1-line block ×5, first 2 shown]
	v_add_f16_e32 v11, v44, v11
	v_sub_f16_e32 v7, v6, v7
	v_sub_f16_e32 v5, v29, v5
	;; [unrolled: 1-line block ×5, first 2 shown]
	v_pack_b32_f16 v15, v15, v73
	v_sub_f16_e32 v35, v30, v35
	v_pack_b32_f16 v2, v42, v68
	v_sub_f16_e32 v9, v37, v9
	v_fma_f16 v33, v43, 2.0, -v8
	v_add_f16_e32 v42, v65, v4
	v_fma_f16 v3, v3, 2.0, -v4
	v_fma_f16 v4, v58, 2.0, -v65
	;; [unrolled: 1-line block ×5, first 2 shown]
	global_store_dword v[20:21], v49, off offset:1352
	global_store_dword v[97:98], v15, off offset:656
	v_fma_f16 v15, v44, 2.0, -v11
	v_fma_f16 v6, v6, 2.0, -v7
	v_add_f16_e32 v44, v40, v1
	v_fma_f16 v29, v29, 2.0, -v5
	v_fma_f16 v0, v0, 2.0, -v1
	;; [unrolled: 1-line block ×5, first 2 shown]
	global_store_dword v[20:21], v2, off
	v_fma_f16 v2, v37, 2.0, -v9
	v_sub_f16_e32 v37, v4, v43
	v_sub_f16_e32 v43, v5, v38
	v_add_f16_e32 v34, v13, v7
	v_sub_f16_e32 v7, v61, v41
	v_sub_f16_e32 v6, v32, v6
	;; [unrolled: 1-line block ×6, first 2 shown]
	v_fma_f16 v5, v5, 2.0, -v43
	v_fma_f16 v40, v40, 2.0, -v44
	;; [unrolled: 1-line block ×4, first 2 shown]
	v_pack_b32_f16 v6, v6, v7
	v_fma_f16 v7, v29, 2.0, -v0
	v_fma_f16 v1, v1, 2.0, -v36
	;; [unrolled: 1-line block ×8, first 2 shown]
	v_pack_b32_f16 v38, v41, v42
	v_pack_b32_f16 v41, v43, v44
	;; [unrolled: 1-line block ×12, first 2 shown]
	global_store_dword v[99:100], v41, off
	global_store_dword v[83:84], v5, off
	;; [unrolled: 1-line block ×13, first 2 shown]
	v_sub_nc_u32_e32 v4, v113, v115
	v_lshlrev_b64 v[0:1], 2, v[22:23]
	v_add_co_u32 v2, vcc_lo, v18, v95
	v_fmac_f16_e32 v126, v47, v122
	v_mad_u32_u24 v22, 0x548, v114, v4
	v_fmac_f16_e32 v127, v48, v124
	v_add_co_ci_u32_e32 v3, vcc_lo, v19, v96, vcc_lo
	v_add_co_u32 v0, vcc_lo, v18, v0
	v_pack_b32_f16 v6, v16, v15
	v_pack_b32_f16 v7, v9, v8
	v_add_co_ci_u32_e32 v1, vcc_lo, v19, v1, vcc_lo
	v_pack_b32_f16 v8, v39, v11
	v_add_nc_u32_e32 v4, 0x152, v22
	v_mov_b32_e32 v5, v23
	v_sub_f16_e32 v47, v126, v127
	v_sub_f16_e32 v48, v71, v125
	;; [unrolled: 1-line block ×3, first 2 shown]
	global_store_dword v[93:94], v6, off
	global_store_dword v[2:3], v7, off
	v_lshlrev_b64 v[2:3], 2, v[22:23]
	global_store_dword v[0:1], v8, off
	v_lshlrev_b64 v[0:1], 2, v[4:5]
	v_add_nc_u32_e32 v4, 0x2a4, v22
	v_fma_f16 v80, v126, 2.0, -v47
	v_fma_f16 v45, v45, 2.0, -v17
	;; [unrolled: 1-line block ×4, first 2 shown]
	v_add_nc_u32_e32 v22, 0x3f6, v22
	v_add_co_u32 v2, vcc_lo, v18, v2
	v_lshlrev_b64 v[4:5], 2, v[4:5]
	v_sub_f16_e32 v50, v71, v80
	v_sub_f16_e32 v12, v45, v12
	v_add_co_ci_u32_e32 v3, vcc_lo, v19, v3, vcc_lo
	v_sub_f16_e32 v47, v17, v47
	v_add_f16_e32 v14, v48, v14
	v_add_co_u32 v6, vcc_lo, v18, v0
	v_lshlrev_b64 v[8:9], 2, v[22:23]
	v_add_co_ci_u32_e32 v7, vcc_lo, v19, v1, vcc_lo
	v_add_co_u32 v4, vcc_lo, v18, v4
	v_fma_f16 v66, v71, 2.0, -v50
	v_fma_f16 v31, v45, 2.0, -v12
	v_add_nc_u32_e32 v0, 0x138, v24
	v_fma_f16 v17, v17, 2.0, -v47
	v_fma_f16 v48, v48, 2.0, -v14
	v_add_co_ci_u32_e32 v5, vcc_lo, v19, v5, vcc_lo
	v_add_co_u32 v8, vcc_lo, v18, v8
	v_add_co_ci_u32_e32 v9, vcc_lo, v19, v9, vcc_lo
	v_pack_b32_f16 v10, v31, v66
	v_cmp_gt_u32_e32 vcc_lo, 0x152, v0
	v_pack_b32_f16 v1, v17, v48
	v_pack_b32_f16 v11, v12, v50
	;; [unrolled: 1-line block ×3, first 2 shown]
	global_store_dword v[2:3], v10, off
	global_store_dword v[6:7], v1, off
	global_store_dword v[4:5], v11, off
	global_store_dword v[8:9], v12, off
	s_and_b32 exec_lo, exec_lo, vcc_lo
	s_cbranch_execz .LBB0_20
; %bb.19:
	v_mul_i32_i24_e32 v22, 3, v25
	v_lshrrev_b32_e32 v9, 16, v26
	v_lshlrev_b64 v[1:2], 2, v[22:23]
	v_add_nc_u32_e32 v22, 0x28a, v24
	v_lshlrev_b64 v[5:6], 2, v[22:23]
	v_add_co_u32 v1, vcc_lo, s8, v1
	v_add_co_ci_u32_e32 v2, vcc_lo, s9, v2, vcc_lo
	v_add_nc_u32_e32 v22, 0x3dc, v24
	global_load_dwordx3 v[2:4], v[1:2], off offset:1344
	v_mov_b32_e32 v1, v23
	v_lshlrev_b64 v[7:8], 2, v[22:23]
	v_add_nc_u32_e32 v22, 0x52e, v24
	v_lshlrev_b64 v[0:1], 2, v[0:1]
	v_add_co_u32 v0, vcc_lo, v18, v0
	v_add_co_ci_u32_e32 v1, vcc_lo, v19, v1, vcc_lo
	s_waitcnt vmcnt(0)
	v_mul_f16_sdwa v10, v54, v2 dst_sel:DWORD dst_unused:UNUSED_PAD src0_sel:DWORD src1_sel:WORD_1
	v_mul_f16_sdwa v11, v9, v2 dst_sel:DWORD dst_unused:UNUSED_PAD src0_sel:DWORD src1_sel:WORD_1
	;; [unrolled: 1-line block ×6, first 2 shown]
	v_fma_f16 v9, v9, v2, -v10
	v_fmac_f16_e32 v11, v54, v2
	v_fma_f16 v2, v27, v3, -v12
	v_fmac_f16_e32 v13, v55, v3
	;; [unrolled: 2-line block ×3, first 2 shown]
	v_sub_f16_e32 v10, v26, v2
	v_sub_f16_e32 v12, v53, v13
	;; [unrolled: 1-line block ×4, first 2 shown]
	v_add_co_u32 v2, vcc_lo, v18, v5
	v_add_co_ci_u32_e32 v3, vcc_lo, v19, v6, vcc_lo
	v_fma_f16 v15, v26, 2.0, -v10
	v_fma_f16 v16, v53, 2.0, -v12
	;; [unrolled: 1-line block ×4, first 2 shown]
	v_sub_f16_e32 v11, v10, v14
	v_add_f16_e32 v13, v12, v13
	v_lshlrev_b64 v[4:5], 2, v[22:23]
	v_sub_f16_e32 v14, v15, v6
	v_sub_f16_e32 v9, v16, v9
	v_add_co_u32 v6, vcc_lo, v18, v7
	v_add_co_ci_u32_e32 v7, vcc_lo, v19, v8, vcc_lo
	v_fma_f16 v8, v10, 2.0, -v11
	v_fma_f16 v10, v12, 2.0, -v13
	;; [unrolled: 1-line block ×4, first 2 shown]
	v_add_co_u32 v4, vcc_lo, v18, v4
	v_pack_b32_f16 v8, v8, v10
	v_pack_b32_f16 v9, v14, v9
	;; [unrolled: 1-line block ×3, first 2 shown]
	v_add_co_ci_u32_e32 v5, vcc_lo, v19, v5, vcc_lo
	v_pack_b32_f16 v11, v11, v13
	global_store_dword v[2:3], v8, off
	global_store_dword v[6:7], v9, off
	;; [unrolled: 1-line block ×4, first 2 shown]
.LBB0_20:
	s_endpgm
	.section	.rodata,"a",@progbits
	.p2align	6, 0x0
	.amdhsa_kernel fft_rtc_fwd_len1352_factors_2_13_13_4_wgs_52_tpt_52_halfLds_half_op_CI_CI_unitstride_sbrr_dirReg
		.amdhsa_group_segment_fixed_size 0
		.amdhsa_private_segment_fixed_size 0
		.amdhsa_kernarg_size 104
		.amdhsa_user_sgpr_count 6
		.amdhsa_user_sgpr_private_segment_buffer 1
		.amdhsa_user_sgpr_dispatch_ptr 0
		.amdhsa_user_sgpr_queue_ptr 0
		.amdhsa_user_sgpr_kernarg_segment_ptr 1
		.amdhsa_user_sgpr_dispatch_id 0
		.amdhsa_user_sgpr_flat_scratch_init 0
		.amdhsa_user_sgpr_private_segment_size 0
		.amdhsa_wavefront_size32 1
		.amdhsa_uses_dynamic_stack 0
		.amdhsa_system_sgpr_private_segment_wavefront_offset 0
		.amdhsa_system_sgpr_workgroup_id_x 1
		.amdhsa_system_sgpr_workgroup_id_y 0
		.amdhsa_system_sgpr_workgroup_id_z 0
		.amdhsa_system_sgpr_workgroup_info 0
		.amdhsa_system_vgpr_workitem_id 0
		.amdhsa_next_free_vgpr 128
		.amdhsa_next_free_sgpr 27
		.amdhsa_reserve_vcc 1
		.amdhsa_reserve_flat_scratch 0
		.amdhsa_float_round_mode_32 0
		.amdhsa_float_round_mode_16_64 0
		.amdhsa_float_denorm_mode_32 3
		.amdhsa_float_denorm_mode_16_64 3
		.amdhsa_dx10_clamp 1
		.amdhsa_ieee_mode 1
		.amdhsa_fp16_overflow 0
		.amdhsa_workgroup_processor_mode 1
		.amdhsa_memory_ordered 1
		.amdhsa_forward_progress 0
		.amdhsa_shared_vgpr_count 0
		.amdhsa_exception_fp_ieee_invalid_op 0
		.amdhsa_exception_fp_denorm_src 0
		.amdhsa_exception_fp_ieee_div_zero 0
		.amdhsa_exception_fp_ieee_overflow 0
		.amdhsa_exception_fp_ieee_underflow 0
		.amdhsa_exception_fp_ieee_inexact 0
		.amdhsa_exception_int_div_zero 0
	.end_amdhsa_kernel
	.text
.Lfunc_end0:
	.size	fft_rtc_fwd_len1352_factors_2_13_13_4_wgs_52_tpt_52_halfLds_half_op_CI_CI_unitstride_sbrr_dirReg, .Lfunc_end0-fft_rtc_fwd_len1352_factors_2_13_13_4_wgs_52_tpt_52_halfLds_half_op_CI_CI_unitstride_sbrr_dirReg
                                        ; -- End function
	.section	.AMDGPU.csdata,"",@progbits
; Kernel info:
; codeLenInByte = 20572
; NumSgprs: 29
; NumVgprs: 128
; ScratchSize: 0
; MemoryBound: 0
; FloatMode: 240
; IeeeMode: 1
; LDSByteSize: 0 bytes/workgroup (compile time only)
; SGPRBlocks: 3
; VGPRBlocks: 15
; NumSGPRsForWavesPerEU: 29
; NumVGPRsForWavesPerEU: 128
; Occupancy: 8
; WaveLimiterHint : 1
; COMPUTE_PGM_RSRC2:SCRATCH_EN: 0
; COMPUTE_PGM_RSRC2:USER_SGPR: 6
; COMPUTE_PGM_RSRC2:TRAP_HANDLER: 0
; COMPUTE_PGM_RSRC2:TGID_X_EN: 1
; COMPUTE_PGM_RSRC2:TGID_Y_EN: 0
; COMPUTE_PGM_RSRC2:TGID_Z_EN: 0
; COMPUTE_PGM_RSRC2:TIDIG_COMP_CNT: 0
	.text
	.p2alignl 6, 3214868480
	.fill 48, 4, 3214868480
	.type	__hip_cuid_9bad1fe4e047a5d0,@object ; @__hip_cuid_9bad1fe4e047a5d0
	.section	.bss,"aw",@nobits
	.globl	__hip_cuid_9bad1fe4e047a5d0
__hip_cuid_9bad1fe4e047a5d0:
	.byte	0                               ; 0x0
	.size	__hip_cuid_9bad1fe4e047a5d0, 1

	.ident	"AMD clang version 19.0.0git (https://github.com/RadeonOpenCompute/llvm-project roc-6.4.0 25133 c7fe45cf4b819c5991fe208aaa96edf142730f1d)"
	.section	".note.GNU-stack","",@progbits
	.addrsig
	.addrsig_sym __hip_cuid_9bad1fe4e047a5d0
	.amdgpu_metadata
---
amdhsa.kernels:
  - .args:
      - .actual_access:  read_only
        .address_space:  global
        .offset:         0
        .size:           8
        .value_kind:     global_buffer
      - .offset:         8
        .size:           8
        .value_kind:     by_value
      - .actual_access:  read_only
        .address_space:  global
        .offset:         16
        .size:           8
        .value_kind:     global_buffer
      - .actual_access:  read_only
        .address_space:  global
        .offset:         24
        .size:           8
        .value_kind:     global_buffer
      - .actual_access:  read_only
        .address_space:  global
        .offset:         32
        .size:           8
        .value_kind:     global_buffer
      - .offset:         40
        .size:           8
        .value_kind:     by_value
      - .actual_access:  read_only
        .address_space:  global
        .offset:         48
        .size:           8
        .value_kind:     global_buffer
      - .actual_access:  read_only
        .address_space:  global
        .offset:         56
        .size:           8
        .value_kind:     global_buffer
      - .offset:         64
        .size:           4
        .value_kind:     by_value
      - .actual_access:  read_only
        .address_space:  global
        .offset:         72
        .size:           8
        .value_kind:     global_buffer
      - .actual_access:  read_only
        .address_space:  global
        .offset:         80
        .size:           8
        .value_kind:     global_buffer
      - .actual_access:  read_only
        .address_space:  global
        .offset:         88
        .size:           8
        .value_kind:     global_buffer
      - .actual_access:  write_only
        .address_space:  global
        .offset:         96
        .size:           8
        .value_kind:     global_buffer
    .group_segment_fixed_size: 0
    .kernarg_segment_align: 8
    .kernarg_segment_size: 104
    .language:       OpenCL C
    .language_version:
      - 2
      - 0
    .max_flat_workgroup_size: 52
    .name:           fft_rtc_fwd_len1352_factors_2_13_13_4_wgs_52_tpt_52_halfLds_half_op_CI_CI_unitstride_sbrr_dirReg
    .private_segment_fixed_size: 0
    .sgpr_count:     29
    .sgpr_spill_count: 0
    .symbol:         fft_rtc_fwd_len1352_factors_2_13_13_4_wgs_52_tpt_52_halfLds_half_op_CI_CI_unitstride_sbrr_dirReg.kd
    .uniform_work_group_size: 1
    .uses_dynamic_stack: false
    .vgpr_count:     128
    .vgpr_spill_count: 0
    .wavefront_size: 32
    .workgroup_processor_mode: 1
amdhsa.target:   amdgcn-amd-amdhsa--gfx1030
amdhsa.version:
  - 1
  - 2
...

	.end_amdgpu_metadata
